;; amdgpu-corpus repo=ROCm/rccl kind=compiled arch=gfx1030 opt=O3
	.amdgcn_target "amdgcn-amd-amdhsa--gfx1030"
	.amdhsa_code_object_version 6
	.text
	.p2align	2                               ; -- Begin function __ockl_fprintf_append_string_n
	.type	__ockl_fprintf_append_string_n,@function
__ockl_fprintf_append_string_n:         ; @__ockl_fprintf_append_string_n
; %bb.0:
	s_waitcnt vmcnt(0) expcnt(0) lgkmcnt(0)
	v_or_b32_e32 v2, 2, v0
	v_cmp_eq_u32_e32 vcc_lo, 0, v6
	v_mbcnt_lo_u32_b32 v35, -1, 0
	s_getpc_b64 s[4:5]
	s_add_u32 s4, s4, .str.3@rel32@lo+4
	s_addc_u32 s5, s5, .str.3@rel32@hi+12
	s_mov_b32 s14, 0
	s_cmp_lg_u64 s[4:5], 0
	v_cndmask_b32_e32 v34, v2, v0, vcc_lo
	s_cbranch_scc0 .LBB0_113
; %bb.1:
	s_load_dwordx2 s[6:7], s[8:9], 0x50
	v_and_b32_e32 v0, -3, v34
	s_getpc_b64 s[4:5]
	s_add_u32 s4, s4, .str.3@rel32@lo+4
	s_addc_u32 s5, s5, .str.3@rel32@hi+12
	v_mov_b32_e32 v11, v1
	v_mov_b32_e32 v2, s4
	v_and_b32_e32 v36, 2, v34
	v_mov_b32_e32 v7, 0
	v_mov_b32_e32 v3, s5
	;; [unrolled: 1-line block ×5, first 2 shown]
	s_mov_b32 s15, 0
	s_branch .LBB0_3
.LBB0_2:                                ;   in Loop: Header=BB0_3 Depth=1
	s_or_b32 exec_lo, exec_lo, s12
	v_sub_co_u32 v4, vcc_lo, v4, v30
	v_sub_co_ci_u32_e64 v5, null, v5, v31, vcc_lo
	v_add_co_u32 v2, s4, v2, v30
	v_add_co_ci_u32_e64 v3, null, v3, v31, s4
	v_cmp_eq_u64_e32 vcc_lo, 0, v[4:5]
	s_or_b32 s15, vcc_lo, s15
	s_andn2_b32 exec_lo, exec_lo, s15
	s_cbranch_execz .LBB0_85
.LBB0_3:                                ; =>This Loop Header: Depth=1
                                        ;     Child Loop BB0_6 Depth 2
                                        ;     Child Loop BB0_14 Depth 2
	;; [unrolled: 1-line block ×11, first 2 shown]
	v_cmp_gt_u64_e32 vcc_lo, 56, v[4:5]
	s_mov_b32 s5, exec_lo
	v_cndmask_b32_e32 v31, 0, v5, vcc_lo
	v_cndmask_b32_e32 v30, 56, v4, vcc_lo
	v_add_co_u32 v16, vcc_lo, v2, 8
	v_add_co_ci_u32_e64 v17, null, 0, v3, vcc_lo
	v_cmpx_gt_u64_e32 8, v[4:5]
	s_xor_b32 s5, exec_lo, s5
	s_cbranch_execz .LBB0_9
; %bb.4:                                ;   in Loop: Header=BB0_3 Depth=1
	s_waitcnt vmcnt(0)
	v_mov_b32_e32 v12, 0
	v_mov_b32_e32 v13, 0
	s_mov_b32 s12, exec_lo
	v_cmpx_ne_u64_e32 0, v[4:5]
	s_cbranch_execz .LBB0_8
; %bb.5:                                ;   in Loop: Header=BB0_3 Depth=1
	v_lshlrev_b64 v[14:15], 3, v[30:31]
	v_mov_b32_e32 v12, 0
	v_mov_b32_e32 v16, v3
	;; [unrolled: 1-line block ×4, first 2 shown]
	s_mov_b64 s[10:11], 0
	s_mov_b32 s13, 0
	.p2align	6
.LBB0_6:                                ;   Parent Loop BB0_3 Depth=1
                                        ; =>  This Inner Loop Header: Depth=2
	global_load_ubyte v0, v[15:16], off
	v_mov_b32_e32 v18, s14
	v_add_co_u32 v15, vcc_lo, v15, 1
	v_add_co_ci_u32_e64 v16, null, 0, v16, vcc_lo
	s_waitcnt vmcnt(0)
	v_and_b32_e32 v17, 0xffff, v0
	v_lshlrev_b64 v[17:18], s10, v[17:18]
	s_add_u32 s10, s10, 8
	s_addc_u32 s11, s11, 0
	v_cmp_eq_u32_e64 s4, s10, v14
	v_or_b32_e32 v13, v18, v13
	v_or_b32_e32 v12, v17, v12
	s_or_b32 s13, s4, s13
	s_andn2_b32 exec_lo, exec_lo, s13
	s_cbranch_execnz .LBB0_6
; %bb.7:                                ;   in Loop: Header=BB0_3 Depth=1
	s_or_b32 exec_lo, exec_lo, s13
.LBB0_8:                                ;   in Loop: Header=BB0_3 Depth=1
	s_or_b32 exec_lo, exec_lo, s12
	v_mov_b32_e32 v17, v3
	v_mov_b32_e32 v16, v2
.LBB0_9:                                ;   in Loop: Header=BB0_3 Depth=1
	s_or_saveexec_b32 s4, s5
	v_mov_b32_e32 v0, 0
	s_xor_b32 exec_lo, exec_lo, s4
	s_cbranch_execz .LBB0_11
; %bb.10:                               ;   in Loop: Header=BB0_3 Depth=1
	global_load_dwordx2 v[12:13], v[2:3], off
	v_add_nc_u32_e32 v0, -8, v30
.LBB0_11:                               ;   in Loop: Header=BB0_3 Depth=1
	s_or_b32 exec_lo, exec_lo, s4
	v_add_co_u32 v18, s4, v16, 8
	v_add_co_ci_u32_e64 v19, null, 0, v17, s4
                                        ; implicit-def: $vgpr14_vgpr15
	s_mov_b32 s4, exec_lo
	v_cmpx_gt_u32_e32 8, v0
	s_xor_b32 s12, exec_lo, s4
	s_cbranch_execz .LBB0_17
; %bb.12:                               ;   in Loop: Header=BB0_3 Depth=1
	v_mov_b32_e32 v14, 0
	v_mov_b32_e32 v15, 0
	s_mov_b32 s13, exec_lo
	v_cmpx_ne_u32_e32 0, v0
	s_cbranch_execz .LBB0_16
; %bb.13:                               ;   in Loop: Header=BB0_3 Depth=1
	v_mov_b32_e32 v14, 0
	v_mov_b32_e32 v15, 0
	s_mov_b64 s[4:5], 0
	s_mov_b32 s16, 0
	s_mov_b64 s[10:11], 0
	.p2align	6
.LBB0_14:                               ;   Parent Loop BB0_3 Depth=1
                                        ; =>  This Inner Loop Header: Depth=2
	v_add_co_u32 v18, vcc_lo, v16, s10
	v_add_co_ci_u32_e64 v19, null, s11, v17, vcc_lo
	s_add_u32 s10, s10, 1
	s_addc_u32 s11, s11, 0
	v_cmp_eq_u32_e32 vcc_lo, s10, v0
	global_load_ubyte v6, v[18:19], off
	v_mov_b32_e32 v19, s14
	s_waitcnt vmcnt(0)
	v_and_b32_e32 v18, 0xffff, v6
	v_lshlrev_b64 v[18:19], s4, v[18:19]
	s_add_u32 s4, s4, 8
	s_addc_u32 s5, s5, 0
	s_or_b32 s16, vcc_lo, s16
	v_or_b32_e32 v15, v19, v15
	v_or_b32_e32 v14, v18, v14
	s_andn2_b32 exec_lo, exec_lo, s16
	s_cbranch_execnz .LBB0_14
; %bb.15:                               ;   in Loop: Header=BB0_3 Depth=1
	s_or_b32 exec_lo, exec_lo, s16
.LBB0_16:                               ;   in Loop: Header=BB0_3 Depth=1
	s_or_b32 exec_lo, exec_lo, s13
	v_mov_b32_e32 v19, v17
	v_mov_b32_e32 v18, v16
                                        ; implicit-def: $vgpr0
.LBB0_17:                               ;   in Loop: Header=BB0_3 Depth=1
	s_or_saveexec_b32 s4, s12
	v_mov_b32_e32 v6, 0
	s_xor_b32 exec_lo, exec_lo, s4
	s_cbranch_execz .LBB0_19
; %bb.18:                               ;   in Loop: Header=BB0_3 Depth=1
	global_load_dwordx2 v[14:15], v[16:17], off
	v_add_nc_u32_e32 v6, -8, v0
.LBB0_19:                               ;   in Loop: Header=BB0_3 Depth=1
	s_or_b32 exec_lo, exec_lo, s4
	v_add_co_u32 v20, s4, v18, 8
	v_add_co_ci_u32_e64 v21, null, 0, v19, s4
	s_mov_b32 s4, exec_lo
	v_cmpx_gt_u32_e32 8, v6
	s_xor_b32 s12, exec_lo, s4
	s_cbranch_execz .LBB0_25
; %bb.20:                               ;   in Loop: Header=BB0_3 Depth=1
	v_mov_b32_e32 v16, 0
	v_mov_b32_e32 v17, 0
	s_mov_b32 s13, exec_lo
	v_cmpx_ne_u32_e32 0, v6
	s_cbranch_execz .LBB0_24
; %bb.21:                               ;   in Loop: Header=BB0_3 Depth=1
	v_mov_b32_e32 v16, 0
	v_mov_b32_e32 v17, 0
	s_mov_b64 s[4:5], 0
	s_mov_b32 s16, 0
	s_mov_b64 s[10:11], 0
	.p2align	6
.LBB0_22:                               ;   Parent Loop BB0_3 Depth=1
                                        ; =>  This Inner Loop Header: Depth=2
	v_add_co_u32 v20, vcc_lo, v18, s10
	v_add_co_ci_u32_e64 v21, null, s11, v19, vcc_lo
	s_add_u32 s10, s10, 1
	s_addc_u32 s11, s11, 0
	v_cmp_eq_u32_e32 vcc_lo, s10, v6
	global_load_ubyte v0, v[20:21], off
	v_mov_b32_e32 v21, s14
	s_waitcnt vmcnt(0)
	v_and_b32_e32 v20, 0xffff, v0
	v_lshlrev_b64 v[20:21], s4, v[20:21]
	s_add_u32 s4, s4, 8
	s_addc_u32 s5, s5, 0
	s_or_b32 s16, vcc_lo, s16
	v_or_b32_e32 v17, v21, v17
	v_or_b32_e32 v16, v20, v16
	s_andn2_b32 exec_lo, exec_lo, s16
	s_cbranch_execnz .LBB0_22
; %bb.23:                               ;   in Loop: Header=BB0_3 Depth=1
	s_or_b32 exec_lo, exec_lo, s16
.LBB0_24:                               ;   in Loop: Header=BB0_3 Depth=1
	s_or_b32 exec_lo, exec_lo, s13
	v_mov_b32_e32 v21, v19
	v_mov_b32_e32 v20, v18
                                        ; implicit-def: $vgpr6
.LBB0_25:                               ;   in Loop: Header=BB0_3 Depth=1
	s_or_saveexec_b32 s4, s12
	v_mov_b32_e32 v0, 0
	s_xor_b32 exec_lo, exec_lo, s4
	s_cbranch_execz .LBB0_27
; %bb.26:                               ;   in Loop: Header=BB0_3 Depth=1
	global_load_dwordx2 v[16:17], v[18:19], off
	v_add_nc_u32_e32 v0, -8, v6
.LBB0_27:                               ;   in Loop: Header=BB0_3 Depth=1
	s_or_b32 exec_lo, exec_lo, s4
	v_add_co_u32 v22, s4, v20, 8
	v_add_co_ci_u32_e64 v23, null, 0, v21, s4
                                        ; implicit-def: $vgpr18_vgpr19
	s_mov_b32 s4, exec_lo
	v_cmpx_gt_u32_e32 8, v0
	s_xor_b32 s12, exec_lo, s4
	s_cbranch_execz .LBB0_33
; %bb.28:                               ;   in Loop: Header=BB0_3 Depth=1
	v_mov_b32_e32 v18, 0
	v_mov_b32_e32 v19, 0
	s_mov_b32 s13, exec_lo
	v_cmpx_ne_u32_e32 0, v0
	s_cbranch_execz .LBB0_32
; %bb.29:                               ;   in Loop: Header=BB0_3 Depth=1
	v_mov_b32_e32 v18, 0
	v_mov_b32_e32 v19, 0
	s_mov_b64 s[4:5], 0
	s_mov_b32 s16, 0
	s_mov_b64 s[10:11], 0
	.p2align	6
.LBB0_30:                               ;   Parent Loop BB0_3 Depth=1
                                        ; =>  This Inner Loop Header: Depth=2
	v_add_co_u32 v22, vcc_lo, v20, s10
	v_add_co_ci_u32_e64 v23, null, s11, v21, vcc_lo
	s_add_u32 s10, s10, 1
	s_addc_u32 s11, s11, 0
	v_cmp_eq_u32_e32 vcc_lo, s10, v0
	global_load_ubyte v6, v[22:23], off
	v_mov_b32_e32 v23, s14
	s_waitcnt vmcnt(0)
	v_and_b32_e32 v22, 0xffff, v6
	v_lshlrev_b64 v[22:23], s4, v[22:23]
	s_add_u32 s4, s4, 8
	s_addc_u32 s5, s5, 0
	s_or_b32 s16, vcc_lo, s16
	v_or_b32_e32 v19, v23, v19
	v_or_b32_e32 v18, v22, v18
	s_andn2_b32 exec_lo, exec_lo, s16
	s_cbranch_execnz .LBB0_30
; %bb.31:                               ;   in Loop: Header=BB0_3 Depth=1
	s_or_b32 exec_lo, exec_lo, s16
.LBB0_32:                               ;   in Loop: Header=BB0_3 Depth=1
	s_or_b32 exec_lo, exec_lo, s13
	v_mov_b32_e32 v23, v21
	v_mov_b32_e32 v22, v20
                                        ; implicit-def: $vgpr0
.LBB0_33:                               ;   in Loop: Header=BB0_3 Depth=1
	s_or_saveexec_b32 s4, s12
	v_mov_b32_e32 v6, 0
	s_xor_b32 exec_lo, exec_lo, s4
	s_cbranch_execz .LBB0_35
; %bb.34:                               ;   in Loop: Header=BB0_3 Depth=1
	global_load_dwordx2 v[18:19], v[20:21], off
	v_add_nc_u32_e32 v6, -8, v0
.LBB0_35:                               ;   in Loop: Header=BB0_3 Depth=1
	s_or_b32 exec_lo, exec_lo, s4
	v_add_co_u32 v24, s4, v22, 8
	v_add_co_ci_u32_e64 v25, null, 0, v23, s4
	s_mov_b32 s4, exec_lo
	v_cmpx_gt_u32_e32 8, v6
	s_xor_b32 s12, exec_lo, s4
	s_cbranch_execz .LBB0_41
; %bb.36:                               ;   in Loop: Header=BB0_3 Depth=1
	v_mov_b32_e32 v20, 0
	v_mov_b32_e32 v21, 0
	s_mov_b32 s13, exec_lo
	v_cmpx_ne_u32_e32 0, v6
	s_cbranch_execz .LBB0_40
; %bb.37:                               ;   in Loop: Header=BB0_3 Depth=1
	v_mov_b32_e32 v20, 0
	v_mov_b32_e32 v21, 0
	s_mov_b64 s[4:5], 0
	s_mov_b32 s16, 0
	s_mov_b64 s[10:11], 0
	.p2align	6
.LBB0_38:                               ;   Parent Loop BB0_3 Depth=1
                                        ; =>  This Inner Loop Header: Depth=2
	v_add_co_u32 v24, vcc_lo, v22, s10
	v_add_co_ci_u32_e64 v25, null, s11, v23, vcc_lo
	s_add_u32 s10, s10, 1
	s_addc_u32 s11, s11, 0
	v_cmp_eq_u32_e32 vcc_lo, s10, v6
	global_load_ubyte v0, v[24:25], off
	v_mov_b32_e32 v25, s14
	s_waitcnt vmcnt(0)
	v_and_b32_e32 v24, 0xffff, v0
	v_lshlrev_b64 v[24:25], s4, v[24:25]
	s_add_u32 s4, s4, 8
	s_addc_u32 s5, s5, 0
	s_or_b32 s16, vcc_lo, s16
	v_or_b32_e32 v21, v25, v21
	v_or_b32_e32 v20, v24, v20
	s_andn2_b32 exec_lo, exec_lo, s16
	s_cbranch_execnz .LBB0_38
; %bb.39:                               ;   in Loop: Header=BB0_3 Depth=1
	s_or_b32 exec_lo, exec_lo, s16
.LBB0_40:                               ;   in Loop: Header=BB0_3 Depth=1
	s_or_b32 exec_lo, exec_lo, s13
	v_mov_b32_e32 v25, v23
	v_mov_b32_e32 v24, v22
                                        ; implicit-def: $vgpr6
.LBB0_41:                               ;   in Loop: Header=BB0_3 Depth=1
	s_or_saveexec_b32 s4, s12
	v_mov_b32_e32 v0, 0
	s_xor_b32 exec_lo, exec_lo, s4
	s_cbranch_execz .LBB0_43
; %bb.42:                               ;   in Loop: Header=BB0_3 Depth=1
	global_load_dwordx2 v[20:21], v[22:23], off
	v_add_nc_u32_e32 v0, -8, v6
.LBB0_43:                               ;   in Loop: Header=BB0_3 Depth=1
	s_or_b32 exec_lo, exec_lo, s4
	v_add_co_u32 v26, s4, v24, 8
	v_add_co_ci_u32_e64 v27, null, 0, v25, s4
                                        ; implicit-def: $vgpr22_vgpr23
	s_mov_b32 s4, exec_lo
	v_cmpx_gt_u32_e32 8, v0
	s_xor_b32 s12, exec_lo, s4
	s_cbranch_execz .LBB0_49
; %bb.44:                               ;   in Loop: Header=BB0_3 Depth=1
	v_mov_b32_e32 v22, 0
	v_mov_b32_e32 v23, 0
	s_mov_b32 s13, exec_lo
	v_cmpx_ne_u32_e32 0, v0
	s_cbranch_execz .LBB0_48
; %bb.45:                               ;   in Loop: Header=BB0_3 Depth=1
	v_mov_b32_e32 v22, 0
	v_mov_b32_e32 v23, 0
	s_mov_b64 s[4:5], 0
	s_mov_b32 s16, 0
	s_mov_b64 s[10:11], 0
	.p2align	6
.LBB0_46:                               ;   Parent Loop BB0_3 Depth=1
                                        ; =>  This Inner Loop Header: Depth=2
	v_add_co_u32 v26, vcc_lo, v24, s10
	v_add_co_ci_u32_e64 v27, null, s11, v25, vcc_lo
	s_add_u32 s10, s10, 1
	s_addc_u32 s11, s11, 0
	v_cmp_eq_u32_e32 vcc_lo, s10, v0
	global_load_ubyte v6, v[26:27], off
	v_mov_b32_e32 v27, s14
	s_waitcnt vmcnt(0)
	v_and_b32_e32 v26, 0xffff, v6
	v_lshlrev_b64 v[26:27], s4, v[26:27]
	s_add_u32 s4, s4, 8
	s_addc_u32 s5, s5, 0
	s_or_b32 s16, vcc_lo, s16
	v_or_b32_e32 v23, v27, v23
	v_or_b32_e32 v22, v26, v22
	s_andn2_b32 exec_lo, exec_lo, s16
	s_cbranch_execnz .LBB0_46
; %bb.47:                               ;   in Loop: Header=BB0_3 Depth=1
	s_or_b32 exec_lo, exec_lo, s16
.LBB0_48:                               ;   in Loop: Header=BB0_3 Depth=1
	s_or_b32 exec_lo, exec_lo, s13
	v_mov_b32_e32 v27, v25
	v_mov_b32_e32 v26, v24
                                        ; implicit-def: $vgpr0
.LBB0_49:                               ;   in Loop: Header=BB0_3 Depth=1
	s_or_saveexec_b32 s4, s12
	v_mov_b32_e32 v6, 0
	s_xor_b32 exec_lo, exec_lo, s4
	s_cbranch_execz .LBB0_51
; %bb.50:                               ;   in Loop: Header=BB0_3 Depth=1
	global_load_dwordx2 v[22:23], v[24:25], off
	v_add_nc_u32_e32 v6, -8, v0
.LBB0_51:                               ;   in Loop: Header=BB0_3 Depth=1
	s_or_b32 exec_lo, exec_lo, s4
	s_mov_b32 s4, exec_lo
	v_cmpx_gt_u32_e32 8, v6
	s_xor_b32 s10, exec_lo, s4
	s_cbranch_execz .LBB0_57
; %bb.52:                               ;   in Loop: Header=BB0_3 Depth=1
	v_mov_b32_e32 v24, 0
	v_mov_b32_e32 v25, 0
	s_mov_b32 s11, exec_lo
	v_cmpx_ne_u32_e32 0, v6
	s_cbranch_execz .LBB0_56
; %bb.53:                               ;   in Loop: Header=BB0_3 Depth=1
	v_mov_b32_e32 v24, 0
	v_mov_b32_e32 v25, 0
	s_mov_b64 s[4:5], 0
	s_mov_b32 s12, 0
	.p2align	6
.LBB0_54:                               ;   Parent Loop BB0_3 Depth=1
                                        ; =>  This Inner Loop Header: Depth=2
	global_load_ubyte v0, v[26:27], off
	v_mov_b32_e32 v29, s14
	v_add_nc_u32_e32 v6, -1, v6
	v_add_co_u32 v26, vcc_lo, v26, 1
	v_add_co_ci_u32_e64 v27, null, 0, v27, vcc_lo
	v_cmp_eq_u32_e32 vcc_lo, 0, v6
	s_waitcnt vmcnt(0)
	v_and_b32_e32 v28, 0xffff, v0
	v_lshlrev_b64 v[28:29], s4, v[28:29]
	s_add_u32 s4, s4, 8
	s_addc_u32 s5, s5, 0
	s_or_b32 s12, vcc_lo, s12
	v_or_b32_e32 v25, v29, v25
	v_or_b32_e32 v24, v28, v24
	s_andn2_b32 exec_lo, exec_lo, s12
	s_cbranch_execnz .LBB0_54
; %bb.55:                               ;   in Loop: Header=BB0_3 Depth=1
	s_or_b32 exec_lo, exec_lo, s12
.LBB0_56:                               ;   in Loop: Header=BB0_3 Depth=1
	s_or_b32 exec_lo, exec_lo, s11
                                        ; implicit-def: $vgpr26_vgpr27
.LBB0_57:                               ;   in Loop: Header=BB0_3 Depth=1
	s_andn2_saveexec_b32 s4, s10
	s_cbranch_execz .LBB0_59
; %bb.58:                               ;   in Loop: Header=BB0_3 Depth=1
	global_load_dwordx2 v[24:25], v[26:27], off
.LBB0_59:                               ;   in Loop: Header=BB0_3 Depth=1
	s_or_b32 exec_lo, exec_lo, s4
	v_readfirstlane_b32 s4, v35
	v_mov_b32_e32 v32, 0
	v_mov_b32_e32 v33, 0
	v_cmp_eq_u32_e64 s4, s4, v35
	s_and_saveexec_b32 s5, s4
	s_cbranch_execz .LBB0_65
; %bb.60:                               ;   in Loop: Header=BB0_3 Depth=1
	s_waitcnt lgkmcnt(0)
	global_load_dwordx2 v[28:29], v7, s[6:7] offset:24 glc dlc
	s_waitcnt vmcnt(0)
	buffer_gl1_inv
	buffer_gl0_inv
	s_clause 0x1
	global_load_dwordx2 v[26:27], v7, s[6:7] offset:40
	global_load_dwordx2 v[32:33], v7, s[6:7]
	s_mov_b32 s10, exec_lo
	s_waitcnt vmcnt(1)
	v_and_b32_e32 v0, v27, v29
	v_and_b32_e32 v6, v26, v28
	v_mul_lo_u32 v0, v0, 24
	v_mul_hi_u32 v26, v6, 24
	v_mul_lo_u32 v6, v6, 24
	v_add_nc_u32_e32 v0, v26, v0
	s_waitcnt vmcnt(0)
	v_add_co_u32 v26, vcc_lo, v32, v6
	v_add_co_ci_u32_e64 v27, null, v33, v0, vcc_lo
	global_load_dwordx2 v[26:27], v[26:27], off glc dlc
	s_waitcnt vmcnt(0)
	global_atomic_cmpswap_x2 v[32:33], v7, v[26:29], s[6:7] offset:24 glc
	s_waitcnt vmcnt(0)
	buffer_gl1_inv
	buffer_gl0_inv
	v_cmpx_ne_u64_e64 v[32:33], v[28:29]
	s_cbranch_execz .LBB0_64
; %bb.61:                               ;   in Loop: Header=BB0_3 Depth=1
	s_mov_b32 s11, 0
	.p2align	6
.LBB0_62:                               ;   Parent Loop BB0_3 Depth=1
                                        ; =>  This Inner Loop Header: Depth=2
	s_sleep 1
	s_clause 0x1
	global_load_dwordx2 v[26:27], v7, s[6:7] offset:40
	global_load_dwordx2 v[37:38], v7, s[6:7]
	v_mov_b32_e32 v28, v32
	v_mov_b32_e32 v29, v33
	s_waitcnt vmcnt(1)
	v_and_b32_e32 v0, v26, v28
	v_and_b32_e32 v6, v27, v29
	s_waitcnt vmcnt(0)
	v_mad_u64_u32 v[32:33], null, v0, 24, v[37:38]
	v_mov_b32_e32 v0, v33
	v_mad_u64_u32 v[26:27], null, v6, 24, v[0:1]
	v_mov_b32_e32 v33, v26
	global_load_dwordx2 v[26:27], v[32:33], off glc dlc
	s_waitcnt vmcnt(0)
	global_atomic_cmpswap_x2 v[32:33], v7, v[26:29], s[6:7] offset:24 glc
	s_waitcnt vmcnt(0)
	buffer_gl1_inv
	buffer_gl0_inv
	v_cmp_eq_u64_e32 vcc_lo, v[32:33], v[28:29]
	s_or_b32 s11, vcc_lo, s11
	s_andn2_b32 exec_lo, exec_lo, s11
	s_cbranch_execnz .LBB0_62
; %bb.63:                               ;   in Loop: Header=BB0_3 Depth=1
	s_or_b32 exec_lo, exec_lo, s11
.LBB0_64:                               ;   in Loop: Header=BB0_3 Depth=1
	s_or_b32 exec_lo, exec_lo, s10
.LBB0_65:                               ;   in Loop: Header=BB0_3 Depth=1
	s_or_b32 exec_lo, exec_lo, s5
	s_waitcnt lgkmcnt(0)
	s_clause 0x1
	global_load_dwordx2 v[37:38], v7, s[6:7] offset:40
	global_load_dwordx4 v[26:29], v7, s[6:7]
	v_readfirstlane_b32 s11, v33
	v_readfirstlane_b32 s10, v32
	s_mov_b32 s5, exec_lo
	s_waitcnt vmcnt(1)
	v_readfirstlane_b32 s12, v37
	v_readfirstlane_b32 s13, v38
	s_and_b64 s[12:13], s[12:13], s[10:11]
	s_mul_i32 s16, s13, 24
	s_mul_hi_u32 s17, s12, 24
	s_mul_i32 s18, s12, 24
	s_add_i32 s17, s17, s16
	s_waitcnt vmcnt(0)
	v_add_co_u32 v32, vcc_lo, v26, s18
	v_add_co_ci_u32_e64 v33, null, s17, v27, vcc_lo
	s_and_saveexec_b32 s16, s4
	s_cbranch_execz .LBB0_67
; %bb.66:                               ;   in Loop: Header=BB0_3 Depth=1
	v_mov_b32_e32 v6, s5
	global_store_dwordx4 v[32:33], v[6:9], off offset:8
.LBB0_67:                               ;   in Loop: Header=BB0_3 Depth=1
	s_or_b32 exec_lo, exec_lo, s16
	v_cmp_gt_u64_e32 vcc_lo, 57, v[4:5]
	s_lshl_b64 s[12:13], s[12:13], 12
	v_and_b32_e32 v10, 0xffffff1f, v10
	v_lshl_add_u32 v37, v30, 2, 28
	v_cndmask_b32_e32 v6, 0, v36, vcc_lo
	v_add_co_u32 v0, vcc_lo, v28, s12
	v_add_co_ci_u32_e64 v28, null, s13, v29, vcc_lo
	v_or_b32_e32 v6, v10, v6
	v_lshlrev_b32_e32 v29, 6, v35
	v_readfirstlane_b32 s12, v0
	v_readfirstlane_b32 s13, v28
	v_and_or_b32 v10, 0x1e0, v37, v6
	global_store_dwordx4 v29, v[14:17], s[12:13] offset:16
	global_store_dwordx4 v29, v[10:13], s[12:13]
	global_store_dwordx4 v29, v[18:21], s[12:13] offset:32
	global_store_dwordx4 v29, v[22:25], s[12:13] offset:48
	s_and_saveexec_b32 s5, s4
	s_cbranch_execz .LBB0_75
; %bb.68:                               ;   in Loop: Header=BB0_3 Depth=1
	s_clause 0x1
	global_load_dwordx2 v[18:19], v7, s[6:7] offset:32 glc dlc
	global_load_dwordx2 v[10:11], v7, s[6:7] offset:40
	v_mov_b32_e32 v16, s10
	v_mov_b32_e32 v17, s11
	s_waitcnt vmcnt(0)
	v_readfirstlane_b32 s12, v10
	v_readfirstlane_b32 s13, v11
	s_and_b64 s[12:13], s[12:13], s[10:11]
	s_mul_i32 s13, s13, 24
	s_mul_hi_u32 s16, s12, 24
	s_mul_i32 s12, s12, 24
	s_add_i32 s16, s16, s13
	v_add_co_u32 v14, vcc_lo, v26, s12
	v_add_co_ci_u32_e64 v15, null, s16, v27, vcc_lo
	s_mov_b32 s12, exec_lo
	global_store_dwordx2 v[14:15], v[18:19], off
	s_waitcnt_vscnt null, 0x0
	global_atomic_cmpswap_x2 v[12:13], v7, v[16:19], s[6:7] offset:32 glc
	s_waitcnt vmcnt(0)
	v_cmpx_ne_u64_e64 v[12:13], v[18:19]
	s_cbranch_execz .LBB0_71
; %bb.69:                               ;   in Loop: Header=BB0_3 Depth=1
	s_mov_b32 s13, 0
.LBB0_70:                               ;   Parent Loop BB0_3 Depth=1
                                        ; =>  This Inner Loop Header: Depth=2
	v_mov_b32_e32 v10, s10
	v_mov_b32_e32 v11, s11
	s_sleep 1
	global_store_dwordx2 v[14:15], v[12:13], off
	s_waitcnt_vscnt null, 0x0
	global_atomic_cmpswap_x2 v[10:11], v7, v[10:13], s[6:7] offset:32 glc
	s_waitcnt vmcnt(0)
	v_cmp_eq_u64_e32 vcc_lo, v[10:11], v[12:13]
	v_mov_b32_e32 v13, v11
	v_mov_b32_e32 v12, v10
	s_or_b32 s13, vcc_lo, s13
	s_andn2_b32 exec_lo, exec_lo, s13
	s_cbranch_execnz .LBB0_70
.LBB0_71:                               ;   in Loop: Header=BB0_3 Depth=1
	s_or_b32 exec_lo, exec_lo, s12
	global_load_dwordx2 v[10:11], v7, s[6:7] offset:16
	s_mov_b32 s13, exec_lo
	s_mov_b32 s12, exec_lo
	v_mbcnt_lo_u32_b32 v6, s13, 0
	v_cmpx_eq_u32_e32 0, v6
	s_cbranch_execz .LBB0_73
; %bb.72:                               ;   in Loop: Header=BB0_3 Depth=1
	s_bcnt1_i32_b32 s13, s13
	v_mov_b32_e32 v6, s13
	s_waitcnt vmcnt(0)
	global_atomic_add_x2 v[10:11], v[6:7], off offset:8
.LBB0_73:                               ;   in Loop: Header=BB0_3 Depth=1
	s_or_b32 exec_lo, exec_lo, s12
	s_waitcnt vmcnt(0)
	global_load_dwordx2 v[12:13], v[10:11], off offset:16
	s_waitcnt vmcnt(0)
	v_cmp_eq_u64_e32 vcc_lo, 0, v[12:13]
	s_cbranch_vccnz .LBB0_75
; %bb.74:                               ;   in Loop: Header=BB0_3 Depth=1
	global_load_dword v6, v[10:11], off offset:24
	s_waitcnt vmcnt(0)
	v_readfirstlane_b32 s12, v6
	s_waitcnt_vscnt null, 0x0
	global_store_dwordx2 v[12:13], v[6:7], off
	s_and_b32 m0, s12, 0x7fffff
	s_sendmsg sendmsg(MSG_INTERRUPT)
.LBB0_75:                               ;   in Loop: Header=BB0_3 Depth=1
	s_or_b32 exec_lo, exec_lo, s5
	v_add_co_u32 v10, vcc_lo, v0, v29
	v_add_co_ci_u32_e64 v11, null, 0, v28, vcc_lo
	s_branch .LBB0_79
	.p2align	6
.LBB0_76:                               ;   in Loop: Header=BB0_79 Depth=2
	s_or_b32 exec_lo, exec_lo, s5
	v_readfirstlane_b32 s5, v0
	s_cmp_eq_u32 s5, 0
	s_cbranch_scc1 .LBB0_78
; %bb.77:                               ;   in Loop: Header=BB0_79 Depth=2
	s_sleep 1
	s_cbranch_execnz .LBB0_79
	s_branch .LBB0_81
	.p2align	6
.LBB0_78:                               ;   in Loop: Header=BB0_3 Depth=1
	s_branch .LBB0_81
.LBB0_79:                               ;   Parent Loop BB0_3 Depth=1
                                        ; =>  This Inner Loop Header: Depth=2
	v_mov_b32_e32 v0, 1
	s_and_saveexec_b32 s5, s4
	s_cbranch_execz .LBB0_76
; %bb.80:                               ;   in Loop: Header=BB0_79 Depth=2
	global_load_dword v0, v[32:33], off offset:20 glc dlc
	s_waitcnt vmcnt(0)
	buffer_gl1_inv
	buffer_gl0_inv
	v_and_b32_e32 v0, 1, v0
	s_branch .LBB0_76
.LBB0_81:                               ;   in Loop: Header=BB0_3 Depth=1
	global_load_dwordx4 v[10:13], v[10:11], off
	s_and_saveexec_b32 s12, s4
	s_cbranch_execz .LBB0_2
; %bb.82:                               ;   in Loop: Header=BB0_3 Depth=1
	s_clause 0x2
	global_load_dwordx2 v[12:13], v7, s[6:7] offset:40
	global_load_dwordx2 v[20:21], v7, s[6:7] offset:24 glc dlc
	global_load_dwordx2 v[14:15], v7, s[6:7]
	s_waitcnt vmcnt(2)
	v_readfirstlane_b32 s16, v12
	v_readfirstlane_b32 s17, v13
	s_add_u32 s13, s16, 1
	s_addc_u32 s18, s17, 0
	s_add_u32 s4, s13, s10
	s_addc_u32 s5, s18, s11
	s_cmp_eq_u64 s[4:5], 0
	s_cselect_b32 s5, s18, s5
	s_cselect_b32 s4, s13, s4
	v_mov_b32_e32 v19, s5
	s_and_b64 s[10:11], s[4:5], s[16:17]
	v_mov_b32_e32 v18, s4
	s_mul_i32 s11, s11, 24
	s_mul_hi_u32 s13, s10, 24
	s_mul_i32 s10, s10, 24
	s_add_i32 s13, s13, s11
	s_waitcnt vmcnt(0)
	v_add_co_u32 v16, vcc_lo, v14, s10
	v_add_co_ci_u32_e64 v17, null, s13, v15, vcc_lo
	global_store_dwordx2 v[16:17], v[20:21], off
	s_waitcnt_vscnt null, 0x0
	global_atomic_cmpswap_x2 v[14:15], v7, v[18:21], s[6:7] offset:24 glc
	s_waitcnt vmcnt(0)
	v_cmp_ne_u64_e32 vcc_lo, v[14:15], v[20:21]
	s_and_b32 exec_lo, exec_lo, vcc_lo
	s_cbranch_execz .LBB0_2
; %bb.83:                               ;   in Loop: Header=BB0_3 Depth=1
	s_mov_b32 s10, 0
.LBB0_84:                               ;   Parent Loop BB0_3 Depth=1
                                        ; =>  This Inner Loop Header: Depth=2
	v_mov_b32_e32 v12, s4
	v_mov_b32_e32 v13, s5
	s_sleep 1
	global_store_dwordx2 v[16:17], v[14:15], off
	s_waitcnt_vscnt null, 0x0
	global_atomic_cmpswap_x2 v[12:13], v7, v[12:15], s[6:7] offset:24 glc
	s_waitcnt vmcnt(0)
	v_cmp_eq_u64_e32 vcc_lo, v[12:13], v[14:15]
	v_mov_b32_e32 v15, v13
	v_mov_b32_e32 v14, v12
	s_or_b32 s10, vcc_lo, s10
	s_andn2_b32 exec_lo, exec_lo, s10
	s_cbranch_execnz .LBB0_84
	s_branch .LBB0_2
.LBB0_85:
	s_or_b32 exec_lo, exec_lo, s15
	s_branch .LBB0_114
.LBB0_86:
	s_load_dwordx2 s[6:7], s[8:9], 0x50
	v_readfirstlane_b32 s4, v35
	v_mov_b32_e32 v8, 0
	v_mov_b32_e32 v9, 0
	v_cmp_eq_u32_e64 s4, s4, v35
	s_and_saveexec_b32 s5, s4
	s_cbranch_execz .LBB0_92
; %bb.87:
	v_mov_b32_e32 v0, 0
	s_mov_b32 s8, exec_lo
	s_waitcnt lgkmcnt(0)
	global_load_dwordx2 v[4:5], v0, s[6:7] offset:24 glc dlc
	s_waitcnt vmcnt(0)
	buffer_gl1_inv
	buffer_gl0_inv
	s_clause 0x1
	global_load_dwordx2 v[2:3], v0, s[6:7] offset:40
	global_load_dwordx2 v[6:7], v0, s[6:7]
	s_waitcnt vmcnt(1)
	v_and_b32_e32 v3, v3, v5
	v_and_b32_e32 v2, v2, v4
	v_mul_lo_u32 v3, v3, 24
	v_mul_hi_u32 v8, v2, 24
	v_mul_lo_u32 v2, v2, 24
	v_add_nc_u32_e32 v3, v8, v3
	s_waitcnt vmcnt(0)
	v_add_co_u32 v2, vcc_lo, v6, v2
	v_add_co_ci_u32_e64 v3, null, v7, v3, vcc_lo
	global_load_dwordx2 v[2:3], v[2:3], off glc dlc
	s_waitcnt vmcnt(0)
	global_atomic_cmpswap_x2 v[8:9], v0, v[2:5], s[6:7] offset:24 glc
	s_waitcnt vmcnt(0)
	buffer_gl1_inv
	buffer_gl0_inv
	v_cmpx_ne_u64_e64 v[8:9], v[4:5]
	s_cbranch_execz .LBB0_91
; %bb.88:
	s_mov_b32 s9, 0
	.p2align	6
.LBB0_89:                               ; =>This Inner Loop Header: Depth=1
	s_sleep 1
	s_clause 0x1
	global_load_dwordx2 v[2:3], v0, s[6:7] offset:40
	global_load_dwordx2 v[6:7], v0, s[6:7]
	v_mov_b32_e32 v4, v8
	v_mov_b32_e32 v5, v9
	s_waitcnt vmcnt(1)
	v_and_b32_e32 v2, v2, v4
	v_and_b32_e32 v3, v3, v5
	s_waitcnt vmcnt(0)
	v_mad_u64_u32 v[6:7], null, v2, 24, v[6:7]
	v_mov_b32_e32 v2, v7
	v_mad_u64_u32 v[2:3], null, v3, 24, v[2:3]
	v_mov_b32_e32 v7, v2
	global_load_dwordx2 v[2:3], v[6:7], off glc dlc
	s_waitcnt vmcnt(0)
	global_atomic_cmpswap_x2 v[8:9], v0, v[2:5], s[6:7] offset:24 glc
	s_waitcnt vmcnt(0)
	buffer_gl1_inv
	buffer_gl0_inv
	v_cmp_eq_u64_e32 vcc_lo, v[8:9], v[4:5]
	s_or_b32 s9, vcc_lo, s9
	s_andn2_b32 exec_lo, exec_lo, s9
	s_cbranch_execnz .LBB0_89
; %bb.90:
	s_or_b32 exec_lo, exec_lo, s9
.LBB0_91:
	s_or_b32 exec_lo, exec_lo, s8
.LBB0_92:
	s_or_b32 exec_lo, exec_lo, s5
	v_mov_b32_e32 v2, 0
	v_readfirstlane_b32 s9, v9
	v_readfirstlane_b32 s8, v8
	s_mov_b32 s5, exec_lo
	s_waitcnt lgkmcnt(0)
	s_clause 0x1
	global_load_dwordx2 v[10:11], v2, s[6:7] offset:40
	global_load_dwordx4 v[4:7], v2, s[6:7]
	s_waitcnt vmcnt(1)
	v_readfirstlane_b32 s10, v10
	v_readfirstlane_b32 s11, v11
	s_and_b64 s[10:11], s[10:11], s[8:9]
	s_mul_i32 s12, s11, 24
	s_mul_hi_u32 s13, s10, 24
	s_mul_i32 s14, s10, 24
	s_add_i32 s13, s13, s12
	s_waitcnt vmcnt(0)
	v_add_co_u32 v8, vcc_lo, v4, s14
	v_add_co_ci_u32_e64 v9, null, s13, v5, vcc_lo
	s_and_saveexec_b32 s12, s4
	s_cbranch_execz .LBB0_94
; %bb.93:
	v_mov_b32_e32 v10, s5
	v_mov_b32_e32 v11, v2
	v_mov_b32_e32 v12, 2
	v_mov_b32_e32 v13, 1
	global_store_dwordx4 v[8:9], v[10:13], off offset:8
.LBB0_94:
	s_or_b32 exec_lo, exec_lo, s12
	s_lshl_b64 s[10:11], s[10:11], 12
	s_mov_b32 s12, 0
	v_add_co_u32 v6, vcc_lo, v6, s10
	v_add_co_ci_u32_e64 v7, null, s11, v7, vcc_lo
	s_mov_b32 s13, s12
	s_mov_b32 s14, s12
	;; [unrolled: 1-line block ×3, first 2 shown]
	v_and_or_b32 v0, 0xffffff1f, v34, 32
	v_lshlrev_b32_e32 v14, 6, v35
	v_mov_b32_e32 v3, v2
	v_readfirstlane_b32 s10, v6
	v_readfirstlane_b32 s11, v7
	v_mov_b32_e32 v10, s12
	v_mov_b32_e32 v11, s13
	;; [unrolled: 1-line block ×4, first 2 shown]
	global_store_dwordx4 v14, v[0:3], s[10:11]
	global_store_dwordx4 v14, v[10:13], s[10:11] offset:16
	global_store_dwordx4 v14, v[10:13], s[10:11] offset:32
	;; [unrolled: 1-line block ×3, first 2 shown]
	s_and_saveexec_b32 s5, s4
	s_cbranch_execz .LBB0_102
; %bb.95:
	v_mov_b32_e32 v6, 0
	v_mov_b32_e32 v10, s8
	;; [unrolled: 1-line block ×3, first 2 shown]
	s_mov_b32 s10, exec_lo
	s_clause 0x1
	global_load_dwordx2 v[12:13], v6, s[6:7] offset:32 glc dlc
	global_load_dwordx2 v[0:1], v6, s[6:7] offset:40
	s_waitcnt vmcnt(0)
	v_and_b32_e32 v1, s9, v1
	v_and_b32_e32 v0, s8, v0
	v_mul_lo_u32 v1, v1, 24
	v_mul_hi_u32 v2, v0, 24
	v_mul_lo_u32 v0, v0, 24
	v_add_nc_u32_e32 v1, v2, v1
	v_add_co_u32 v4, vcc_lo, v4, v0
	v_add_co_ci_u32_e64 v5, null, v5, v1, vcc_lo
	global_store_dwordx2 v[4:5], v[12:13], off
	s_waitcnt_vscnt null, 0x0
	global_atomic_cmpswap_x2 v[2:3], v6, v[10:13], s[6:7] offset:32 glc
	s_waitcnt vmcnt(0)
	v_cmpx_ne_u64_e64 v[2:3], v[12:13]
	s_cbranch_execz .LBB0_98
; %bb.96:
	s_mov_b32 s11, 0
.LBB0_97:                               ; =>This Inner Loop Header: Depth=1
	v_mov_b32_e32 v0, s8
	v_mov_b32_e32 v1, s9
	s_sleep 1
	global_store_dwordx2 v[4:5], v[2:3], off
	s_waitcnt_vscnt null, 0x0
	global_atomic_cmpswap_x2 v[0:1], v6, v[0:3], s[6:7] offset:32 glc
	s_waitcnt vmcnt(0)
	v_cmp_eq_u64_e32 vcc_lo, v[0:1], v[2:3]
	v_mov_b32_e32 v3, v1
	v_mov_b32_e32 v2, v0
	s_or_b32 s11, vcc_lo, s11
	s_andn2_b32 exec_lo, exec_lo, s11
	s_cbranch_execnz .LBB0_97
.LBB0_98:
	s_or_b32 exec_lo, exec_lo, s10
	v_mov_b32_e32 v3, 0
	s_mov_b32 s11, exec_lo
	s_mov_b32 s10, exec_lo
	v_mbcnt_lo_u32_b32 v2, s11, 0
	global_load_dwordx2 v[0:1], v3, s[6:7] offset:16
	v_cmpx_eq_u32_e32 0, v2
	s_cbranch_execz .LBB0_100
; %bb.99:
	s_bcnt1_i32_b32 s11, s11
	v_mov_b32_e32 v2, s11
	s_waitcnt vmcnt(0)
	global_atomic_add_x2 v[0:1], v[2:3], off offset:8
.LBB0_100:
	s_or_b32 exec_lo, exec_lo, s10
	s_waitcnt vmcnt(0)
	global_load_dwordx2 v[2:3], v[0:1], off offset:16
	s_waitcnt vmcnt(0)
	v_cmp_eq_u64_e32 vcc_lo, 0, v[2:3]
	s_cbranch_vccnz .LBB0_102
; %bb.101:
	global_load_dword v0, v[0:1], off offset:24
	v_mov_b32_e32 v1, 0
	s_waitcnt vmcnt(0)
	v_readfirstlane_b32 s10, v0
	s_waitcnt_vscnt null, 0x0
	global_store_dwordx2 v[2:3], v[0:1], off
	s_and_b32 m0, s10, 0x7fffff
	s_sendmsg sendmsg(MSG_INTERRUPT)
.LBB0_102:
	s_or_b32 exec_lo, exec_lo, s5
	s_branch .LBB0_106
	.p2align	6
.LBB0_103:                              ;   in Loop: Header=BB0_106 Depth=1
	s_or_b32 exec_lo, exec_lo, s5
	v_readfirstlane_b32 s5, v0
	s_cmp_eq_u32 s5, 0
	s_cbranch_scc1 .LBB0_105
; %bb.104:                              ;   in Loop: Header=BB0_106 Depth=1
	s_sleep 1
	s_cbranch_execnz .LBB0_106
	s_branch .LBB0_108
	.p2align	6
.LBB0_105:
	s_branch .LBB0_108
.LBB0_106:                              ; =>This Inner Loop Header: Depth=1
	v_mov_b32_e32 v0, 1
	s_and_saveexec_b32 s5, s4
	s_cbranch_execz .LBB0_103
; %bb.107:                              ;   in Loop: Header=BB0_106 Depth=1
	global_load_dword v0, v[8:9], off offset:20 glc dlc
	s_waitcnt vmcnt(0)
	buffer_gl1_inv
	buffer_gl0_inv
	v_and_b32_e32 v0, 1, v0
	s_branch .LBB0_103
.LBB0_108:
	s_and_saveexec_b32 s10, s4
	s_cbranch_execz .LBB0_112
; %bb.109:
	v_mov_b32_e32 v6, 0
	s_clause 0x2
	global_load_dwordx2 v[0:1], v6, s[6:7] offset:40
	global_load_dwordx2 v[9:10], v6, s[6:7] offset:24 glc dlc
	global_load_dwordx2 v[2:3], v6, s[6:7]
	s_waitcnt vmcnt(2)
	v_readfirstlane_b32 s12, v0
	v_readfirstlane_b32 s13, v1
	s_add_u32 s11, s12, 1
	s_addc_u32 s14, s13, 0
	s_add_u32 s4, s11, s8
	s_addc_u32 s5, s14, s9
	s_cmp_eq_u64 s[4:5], 0
	s_cselect_b32 s5, s14, s5
	s_cselect_b32 s4, s11, s4
	v_mov_b32_e32 v8, s5
	s_and_b64 s[8:9], s[4:5], s[12:13]
	v_mov_b32_e32 v7, s4
	s_mul_i32 s9, s9, 24
	s_mul_hi_u32 s11, s8, 24
	s_mul_i32 s8, s8, 24
	s_add_i32 s11, s11, s9
	s_waitcnt vmcnt(0)
	v_add_co_u32 v4, vcc_lo, v2, s8
	v_add_co_ci_u32_e64 v5, null, s11, v3, vcc_lo
	global_store_dwordx2 v[4:5], v[9:10], off
	s_waitcnt_vscnt null, 0x0
	global_atomic_cmpswap_x2 v[2:3], v6, v[7:10], s[6:7] offset:24 glc
	s_waitcnt vmcnt(0)
	v_cmp_ne_u64_e32 vcc_lo, v[2:3], v[9:10]
	s_and_b32 exec_lo, exec_lo, vcc_lo
	s_cbranch_execz .LBB0_112
; %bb.110:
	s_mov_b32 s8, 0
.LBB0_111:                              ; =>This Inner Loop Header: Depth=1
	v_mov_b32_e32 v0, s4
	v_mov_b32_e32 v1, s5
	s_sleep 1
	global_store_dwordx2 v[4:5], v[2:3], off
	s_waitcnt_vscnt null, 0x0
	global_atomic_cmpswap_x2 v[0:1], v6, v[0:3], s[6:7] offset:24 glc
	s_waitcnt vmcnt(0)
	v_cmp_eq_u64_e32 vcc_lo, v[0:1], v[2:3]
	v_mov_b32_e32 v3, v1
	v_mov_b32_e32 v2, v0
	s_or_b32 s8, vcc_lo, s8
	s_andn2_b32 exec_lo, exec_lo, s8
	s_cbranch_execnz .LBB0_111
.LBB0_112:
	s_or_b32 exec_lo, exec_lo, s10
	s_waitcnt lgkmcnt(0)
	s_setpc_b64 s[30:31]
.LBB0_113:
	s_cbranch_execnz .LBB0_86
.LBB0_114:
	s_waitcnt vmcnt(0) lgkmcnt(0)
	s_setpc_b64 s[30:31]
.Lfunc_end0:
	.size	__ockl_fprintf_append_string_n, .Lfunc_end0-__ockl_fprintf_append_string_n
                                        ; -- End function
	.set .L__ockl_fprintf_append_string_n.num_vgpr, 39
	.set .L__ockl_fprintf_append_string_n.num_agpr, 0
	.set .L__ockl_fprintf_append_string_n.numbered_sgpr, 32
	.set .L__ockl_fprintf_append_string_n.num_named_barrier, 0
	.set .L__ockl_fprintf_append_string_n.private_seg_size, 0
	.set .L__ockl_fprintf_append_string_n.uses_vcc, 1
	.set .L__ockl_fprintf_append_string_n.uses_flat_scratch, 0
	.set .L__ockl_fprintf_append_string_n.has_dyn_sized_stack, 0
	.set .L__ockl_fprintf_append_string_n.has_recursion, 0
	.set .L__ockl_fprintf_append_string_n.has_indirect_call, 0
	.section	.AMDGPU.csdata,"",@progbits
; Function info:
; codeLenInByte = 4528
; TotalNumSgprs: 34
; NumVgprs: 39
; ScratchSize: 0
; MemoryBound: 0
	.text
	.p2align	2                               ; -- Begin function __assert_fail
	.type	__assert_fail,@function
__assert_fail:                          ; @__assert_fail
; %bb.0:
	s_waitcnt vmcnt(0) expcnt(0) lgkmcnt(0)
	s_mov_b32 s24, s33
	s_mov_b32 s33, s32
	s_xor_saveexec_b32 s4, -1
	buffer_store_dword v39, off, s[0:3], s33 offset:48 ; 4-byte Folded Spill
	s_mov_b32 exec_lo, s4
	v_writelane_b32 v39, s30, 0
	s_addk_i32 s32, 0x800
	v_writelane_b32 v39, s31, 1
	v_mov_b32_e32 v4, v0
	v_mov_b32_e32 v0, 0
	s_getpc_b64 s[4:5]
	s_add_u32 s4, s4, __const.__assert_fail.fmt@rel32@lo+35
	s_addc_u32 s5, s5, __const.__assert_fail.fmt@rel32@hi+43
	v_mbcnt_lo_u32_b32 v32, -1, 0
	v_mov_b32_e32 v6, 0
	v_mov_b32_e32 v5, v1
	global_load_dwordx4 v[8:11], v0, s[4:5]
	s_getpc_b64 s[4:5]
	s_add_u32 s4, s4, __const.__assert_fail.fmt@rel32@lo+4
	s_addc_u32 s5, s5, __const.__assert_fail.fmt@rel32@hi+12
	s_getpc_b64 s[6:7]
	s_add_u32 s6, s6, __const.__assert_fail.fmt@rel32@lo+20
	s_addc_u32 s7, s7, __const.__assert_fail.fmt@rel32@hi+28
	s_clause 0x1
	s_load_dwordx4 s[12:15], s[4:5], 0x0
	s_load_dwordx4 s[16:19], s[6:7], 0x0
	s_load_dwordx2 s[6:7], s[8:9], 0x50
	v_readfirstlane_b32 s4, v32
	v_mov_b32_e32 v7, 0
	v_cmp_eq_u32_e64 s4, s4, v32
	s_waitcnt lgkmcnt(0)
	v_mov_b32_e32 v1, s15
	v_mov_b32_e32 v2, s14
	;; [unrolled: 1-line block ×8, first 2 shown]
	buffer_store_dword v1, off, s[0:3], s33 offset:12
	buffer_store_dword v2, off, s[0:3], s33 offset:8
	;; [unrolled: 1-line block ×3, first 2 shown]
	buffer_store_dword v12, off, s[0:3], s33
	buffer_store_dword v13, off, s[0:3], s33 offset:28
	buffer_store_dword v14, off, s[0:3], s33 offset:24
	;; [unrolled: 1-line block ×4, first 2 shown]
	s_waitcnt vmcnt(0)
	buffer_store_dword v11, off, s[0:3], s33 offset:43
	buffer_store_dword v10, off, s[0:3], s33 offset:39
	;; [unrolled: 1-line block ×4, first 2 shown]
	s_and_saveexec_b32 s5, s4
	s_cbranch_execz .LBB1_6
; %bb.1:
	global_load_dwordx2 v[8:9], v0, s[6:7] offset:24 glc dlc
	s_waitcnt vmcnt(0)
	buffer_gl1_inv
	buffer_gl0_inv
	s_clause 0x1
	global_load_dwordx2 v[1:2], v0, s[6:7] offset:40
	global_load_dwordx2 v[6:7], v0, s[6:7]
	s_mov_b32 s10, exec_lo
	s_waitcnt vmcnt(1)
	v_and_b32_e32 v2, v2, v9
	v_and_b32_e32 v1, v1, v8
	v_mul_lo_u32 v2, v2, 24
	v_mul_hi_u32 v3, v1, 24
	v_mul_lo_u32 v1, v1, 24
	v_add_nc_u32_e32 v2, v3, v2
	s_waitcnt vmcnt(0)
	v_add_co_u32 v1, vcc_lo, v6, v1
	v_add_co_ci_u32_e64 v2, null, v7, v2, vcc_lo
	global_load_dwordx2 v[6:7], v[1:2], off glc dlc
	s_waitcnt vmcnt(0)
	global_atomic_cmpswap_x2 v[6:7], v0, v[6:9], s[6:7] offset:24 glc
	s_waitcnt vmcnt(0)
	buffer_gl1_inv
	buffer_gl0_inv
	v_cmpx_ne_u64_e64 v[6:7], v[8:9]
	s_cbranch_execz .LBB1_5
; %bb.2:
	v_mov_b32_e32 v1, 0
	s_mov_b32 s11, 0
	.p2align	6
.LBB1_3:                                ; =>This Inner Loop Header: Depth=1
	s_sleep 1
	s_clause 0x1
	global_load_dwordx2 v[2:3], v1, s[6:7] offset:40
	global_load_dwordx2 v[10:11], v1, s[6:7]
	v_mov_b32_e32 v9, v7
	v_mov_b32_e32 v8, v6
	s_waitcnt vmcnt(1)
	v_and_b32_e32 v2, v2, v8
	v_and_b32_e32 v3, v3, v9
	s_waitcnt vmcnt(0)
	v_mad_u64_u32 v[6:7], null, v2, 24, v[10:11]
	v_mov_b32_e32 v2, v7
	v_mad_u64_u32 v[2:3], null, v3, 24, v[2:3]
	v_mov_b32_e32 v7, v2
	global_load_dwordx2 v[6:7], v[6:7], off glc dlc
	s_waitcnt vmcnt(0)
	global_atomic_cmpswap_x2 v[6:7], v1, v[6:9], s[6:7] offset:24 glc
	s_waitcnt vmcnt(0)
	buffer_gl1_inv
	buffer_gl0_inv
	v_cmp_eq_u64_e32 vcc_lo, v[6:7], v[8:9]
	s_or_b32 s11, vcc_lo, s11
	s_andn2_b32 exec_lo, exec_lo, s11
	s_cbranch_execnz .LBB1_3
; %bb.4:
	s_or_b32 exec_lo, exec_lo, s11
.LBB1_5:
	s_or_b32 exec_lo, exec_lo, s10
.LBB1_6:
	s_or_b32 exec_lo, exec_lo, s5
	s_clause 0x1
	global_load_dwordx2 v[8:9], v0, s[6:7] offset:40
	global_load_dwordx4 v[0:3], v0, s[6:7]
	v_readfirstlane_b32 s11, v7
	v_readfirstlane_b32 s10, v6
	s_mov_b32 s5, exec_lo
	s_waitcnt vmcnt(1)
	v_readfirstlane_b32 s12, v8
	v_readfirstlane_b32 s13, v9
	s_and_b64 s[12:13], s[12:13], s[10:11]
	s_mul_i32 s14, s13, 24
	s_mul_hi_u32 s15, s12, 24
	s_mul_i32 s16, s12, 24
	s_add_i32 s15, s15, s14
	s_waitcnt vmcnt(0)
	v_add_co_u32 v10, vcc_lo, v0, s16
	v_add_co_ci_u32_e64 v11, null, s15, v1, vcc_lo
	s_and_saveexec_b32 s14, s4
	s_cbranch_execz .LBB1_8
; %bb.7:
	v_mov_b32_e32 v6, s5
	v_mov_b32_e32 v7, 0
	;; [unrolled: 1-line block ×4, first 2 shown]
	global_store_dwordx4 v[10:11], v[6:9], off offset:8
.LBB1_8:
	s_or_b32 exec_lo, exec_lo, s14
	s_lshl_b64 s[12:13], s[12:13], 12
	v_lshlrev_b32_e32 v33, 6, v32
	v_add_co_u32 v2, vcc_lo, v2, s12
	v_add_co_ci_u32_e64 v3, null, s13, v3, vcc_lo
	v_mov_b32_e32 v7, 0
	s_mov_b32 s12, 0
	v_add_co_u32 v12, vcc_lo, v2, v33
	s_mov_b32 s15, s12
	s_mov_b32 s13, s12
	;; [unrolled: 1-line block ×3, first 2 shown]
	v_mov_b32_e32 v6, 33
	v_mov_b32_e32 v8, 1
	;; [unrolled: 1-line block ×3, first 2 shown]
	v_readfirstlane_b32 s16, v2
	v_readfirstlane_b32 s17, v3
	v_mov_b32_e32 v17, s15
	v_add_co_ci_u32_e64 v13, null, 0, v3, vcc_lo
	v_mov_b32_e32 v16, s14
	v_mov_b32_e32 v15, s13
	;; [unrolled: 1-line block ×3, first 2 shown]
	global_store_dwordx4 v33, v[6:9], s[16:17]
	global_store_dwordx4 v33, v[14:17], s[16:17] offset:16
	global_store_dwordx4 v33, v[14:17], s[16:17] offset:32
	;; [unrolled: 1-line block ×3, first 2 shown]
	s_and_saveexec_b32 s5, s4
	s_cbranch_execz .LBB1_16
; %bb.9:
	s_clause 0x1
	global_load_dwordx2 v[16:17], v7, s[6:7] offset:32 glc dlc
	global_load_dwordx2 v[2:3], v7, s[6:7] offset:40
	v_mov_b32_e32 v14, s10
	v_mov_b32_e32 v15, s11
	s_mov_b32 s12, exec_lo
	s_waitcnt vmcnt(0)
	v_and_b32_e32 v3, s11, v3
	v_and_b32_e32 v2, s10, v2
	v_mul_lo_u32 v3, v3, 24
	v_mul_hi_u32 v6, v2, 24
	v_mul_lo_u32 v2, v2, 24
	v_add_nc_u32_e32 v3, v6, v3
	v_add_co_u32 v8, vcc_lo, v0, v2
	v_add_co_ci_u32_e64 v9, null, v1, v3, vcc_lo
	global_store_dwordx2 v[8:9], v[16:17], off
	s_waitcnt_vscnt null, 0x0
	global_atomic_cmpswap_x2 v[2:3], v7, v[14:17], s[6:7] offset:32 glc
	s_waitcnt vmcnt(0)
	v_cmpx_ne_u64_e64 v[2:3], v[16:17]
	s_cbranch_execz .LBB1_12
; %bb.10:
	v_mov_b32_e32 v6, 0
	s_mov_b32 s13, 0
.LBB1_11:                               ; =>This Inner Loop Header: Depth=1
	v_mov_b32_e32 v0, s10
	v_mov_b32_e32 v1, s11
	s_sleep 1
	global_store_dwordx2 v[8:9], v[2:3], off
	s_waitcnt_vscnt null, 0x0
	global_atomic_cmpswap_x2 v[0:1], v6, v[0:3], s[6:7] offset:32 glc
	s_waitcnt vmcnt(0)
	v_cmp_eq_u64_e32 vcc_lo, v[0:1], v[2:3]
	v_mov_b32_e32 v3, v1
	v_mov_b32_e32 v2, v0
	s_or_b32 s13, vcc_lo, s13
	s_andn2_b32 exec_lo, exec_lo, s13
	s_cbranch_execnz .LBB1_11
.LBB1_12:
	s_or_b32 exec_lo, exec_lo, s12
	v_mov_b32_e32 v3, 0
	s_mov_b32 s13, exec_lo
	s_mov_b32 s12, exec_lo
	v_mbcnt_lo_u32_b32 v2, s13, 0
	global_load_dwordx2 v[0:1], v3, s[6:7] offset:16
	v_cmpx_eq_u32_e32 0, v2
	s_cbranch_execz .LBB1_14
; %bb.13:
	s_bcnt1_i32_b32 s13, s13
	v_mov_b32_e32 v2, s13
	s_waitcnt vmcnt(0)
	global_atomic_add_x2 v[0:1], v[2:3], off offset:8
.LBB1_14:
	s_or_b32 exec_lo, exec_lo, s12
	s_waitcnt vmcnt(0)
	global_load_dwordx2 v[2:3], v[0:1], off offset:16
	s_waitcnt vmcnt(0)
	v_cmp_eq_u64_e32 vcc_lo, 0, v[2:3]
	s_cbranch_vccnz .LBB1_16
; %bb.15:
	global_load_dword v0, v[0:1], off offset:24
	v_mov_b32_e32 v1, 0
	s_waitcnt vmcnt(0)
	v_readfirstlane_b32 s12, v0
	s_waitcnt_vscnt null, 0x0
	global_store_dwordx2 v[2:3], v[0:1], off
	s_and_b32 m0, s12, 0x7fffff
	s_sendmsg sendmsg(MSG_INTERRUPT)
.LBB1_16:
	s_or_b32 exec_lo, exec_lo, s5
	s_branch .LBB1_20
	.p2align	6
.LBB1_17:                               ;   in Loop: Header=BB1_20 Depth=1
	s_or_b32 exec_lo, exec_lo, s5
	v_readfirstlane_b32 s5, v0
	s_cmp_eq_u32 s5, 0
	s_cbranch_scc1 .LBB1_19
; %bb.18:                               ;   in Loop: Header=BB1_20 Depth=1
	s_sleep 1
	s_cbranch_execnz .LBB1_20
	s_branch .LBB1_22
	.p2align	6
.LBB1_19:
	s_branch .LBB1_22
.LBB1_20:                               ; =>This Inner Loop Header: Depth=1
	v_mov_b32_e32 v0, 1
	s_and_saveexec_b32 s5, s4
	s_cbranch_execz .LBB1_17
; %bb.21:                               ;   in Loop: Header=BB1_20 Depth=1
	global_load_dword v0, v[10:11], off offset:20 glc dlc
	s_waitcnt vmcnt(0)
	buffer_gl1_inv
	buffer_gl0_inv
	v_and_b32_e32 v0, 1, v0
	s_branch .LBB1_17
.LBB1_22:
	global_load_dwordx2 v[6:7], v[12:13], off
	s_and_saveexec_b32 s12, s4
	s_cbranch_execz .LBB1_26
; %bb.23:
	v_mov_b32_e32 v10, 0
	s_clause 0x2
	global_load_dwordx2 v[0:1], v10, s[6:7] offset:40
	global_load_dwordx2 v[13:14], v10, s[6:7] offset:24 glc dlc
	global_load_dwordx2 v[2:3], v10, s[6:7]
	s_waitcnt vmcnt(2)
	v_readfirstlane_b32 s14, v0
	v_readfirstlane_b32 s15, v1
	s_add_u32 s13, s14, 1
	s_addc_u32 s16, s15, 0
	s_add_u32 s4, s13, s10
	s_addc_u32 s5, s16, s11
	s_cmp_eq_u64 s[4:5], 0
	s_cselect_b32 s5, s16, s5
	s_cselect_b32 s4, s13, s4
	v_mov_b32_e32 v12, s5
	s_and_b64 s[10:11], s[4:5], s[14:15]
	v_mov_b32_e32 v11, s4
	s_mul_i32 s11, s11, 24
	s_mul_hi_u32 s13, s10, 24
	s_mul_i32 s10, s10, 24
	s_add_i32 s13, s13, s11
	s_waitcnt vmcnt(0)
	v_add_co_u32 v8, vcc_lo, v2, s10
	v_add_co_ci_u32_e64 v9, null, s13, v3, vcc_lo
	global_store_dwordx2 v[8:9], v[13:14], off
	s_waitcnt_vscnt null, 0x0
	global_atomic_cmpswap_x2 v[2:3], v10, v[11:14], s[6:7] offset:24 glc
	s_waitcnt vmcnt(0)
	v_cmp_ne_u64_e32 vcc_lo, v[2:3], v[13:14]
	s_and_b32 exec_lo, exec_lo, vcc_lo
	s_cbranch_execz .LBB1_26
; %bb.24:
	s_mov_b32 s10, 0
.LBB1_25:                               ; =>This Inner Loop Header: Depth=1
	v_mov_b32_e32 v0, s4
	v_mov_b32_e32 v1, s5
	s_sleep 1
	global_store_dwordx2 v[8:9], v[2:3], off
	s_waitcnt_vscnt null, 0x0
	global_atomic_cmpswap_x2 v[0:1], v10, v[0:3], s[6:7] offset:24 glc
	s_waitcnt vmcnt(0)
	v_cmp_eq_u64_e32 vcc_lo, v[0:1], v[2:3]
	v_mov_b32_e32 v3, v1
	v_mov_b32_e32 v2, v0
	s_or_b32 s10, vcc_lo, s10
	s_andn2_b32 exec_lo, exec_lo, s10
	s_cbranch_execnz .LBB1_25
.LBB1_26:
	s_or_b32 exec_lo, exec_lo, s12
	s_lshr_b32 s5, s33, 5
	s_mov_b32 s4, 0
.LBB1_27:                               ; =>This Inner Loop Header: Depth=1
	v_mov_b32_e32 v0, s5
	s_add_i32 s5, s5, 1
	buffer_load_ubyte v0, v0, s[0:3], 0 offen
	s_waitcnt vmcnt(0)
	v_cmp_eq_u16_e32 vcc_lo, 0, v0
	v_mov_b32_e32 v0, s5
	s_or_b32 s4, vcc_lo, s4
	s_andn2_b32 exec_lo, exec_lo, s4
	s_cbranch_execnz .LBB1_27
; %bb.28:
	s_or_b32 exec_lo, exec_lo, s4
	s_lshr_b32 s4, s33, 5
	s_cmp_lg_u32 s4, -1
	s_cbranch_scc0 .LBB1_113
; %bb.29:
	v_lshrrev_b32_e64 v1, 5, s33
	v_and_b32_e32 v34, 2, v6
	v_mov_b32_e32 v9, 0
	v_lshrrev_b32_e64 v35, 5, s33
	v_mov_b32_e32 v10, 2
	v_subrev_nc_u32_e32 v28, v1, v0
	v_and_b32_e32 v0, -3, v6
	v_mov_b32_e32 v1, v7
	v_mov_b32_e32 v11, 1
	s_mov_b32 s15, 0
	v_ashrrev_i32_e32 v29, 31, v28
	s_mov_b32 s14, 0
	s_branch .LBB1_31
.LBB1_30:                               ;   in Loop: Header=BB1_31 Depth=1
	s_or_b32 exec_lo, exec_lo, s12
	v_sub_co_u32 v28, vcc_lo, v28, v36
	v_sub_co_ci_u32_e64 v29, null, v29, v26, vcc_lo
	v_add_nc_u32_e32 v35, v35, v36
	v_cmp_eq_u64_e32 vcc_lo, 0, v[28:29]
	s_or_b32 s14, vcc_lo, s14
	s_andn2_b32 exec_lo, exec_lo, s14
	s_cbranch_execz .LBB1_114
.LBB1_31:                               ; =>This Loop Header: Depth=1
                                        ;     Child Loop BB1_34 Depth 2
                                        ;     Child Loop BB1_42 Depth 2
	;; [unrolled: 1-line block ×11, first 2 shown]
	v_cmp_gt_u64_e32 vcc_lo, 56, v[28:29]
	v_add_nc_u32_e32 v14, 8, v35
	s_mov_b32 s5, exec_lo
	v_cndmask_b32_e32 v36, 56, v28, vcc_lo
	v_cmpx_gt_u64_e32 8, v[28:29]
	s_xor_b32 s5, exec_lo, s5
	s_cbranch_execz .LBB1_37
; %bb.32:                               ;   in Loop: Header=BB1_31 Depth=1
	v_mov_b32_e32 v2, 0
	v_mov_b32_e32 v3, 0
	s_mov_b32 s12, exec_lo
	v_cmpx_ne_u64_e32 0, v[28:29]
	s_cbranch_execz .LBB1_36
; %bb.33:                               ;   in Loop: Header=BB1_31 Depth=1
	v_mov_b32_e32 v2, 0
	v_mov_b32_e32 v3, 0
	s_mov_b64 s[10:11], 0
	s_mov_b32 s13, 0
	s_mov_b32 s16, 0
	.p2align	6
.LBB1_34:                               ;   Parent Loop BB1_31 Depth=1
                                        ; =>  This Inner Loop Header: Depth=2
	v_add_nc_u32_e32 v8, s16, v35
	v_mov_b32_e32 v13, s15
	s_add_i32 s16, s16, 1
	v_cmp_eq_u32_e64 s4, s16, v36
	buffer_load_ubyte v8, v8, s[0:3], 0 offen
	s_waitcnt vmcnt(0)
	v_and_b32_e32 v12, 0xffff, v8
	v_lshlrev_b64 v[12:13], s10, v[12:13]
	s_add_u32 s10, s10, 8
	s_addc_u32 s11, s11, 0
	s_or_b32 s13, s4, s13
	v_or_b32_e32 v3, v13, v3
	v_or_b32_e32 v2, v12, v2
	s_andn2_b32 exec_lo, exec_lo, s13
	s_cbranch_execnz .LBB1_34
; %bb.35:                               ;   in Loop: Header=BB1_31 Depth=1
	s_or_b32 exec_lo, exec_lo, s13
.LBB1_36:                               ;   in Loop: Header=BB1_31 Depth=1
	s_or_b32 exec_lo, exec_lo, s12
	v_mov_b32_e32 v14, v35
.LBB1_37:                               ;   in Loop: Header=BB1_31 Depth=1
	s_or_saveexec_b32 s4, s5
	v_mov_b32_e32 v15, 0
	s_xor_b32 exec_lo, exec_lo, s4
	s_cbranch_execz .LBB1_39
; %bb.38:                               ;   in Loop: Header=BB1_31 Depth=1
	s_clause 0x1
	buffer_load_dword v2, v35, s[0:3], 0 offen
	buffer_load_dword v3, v35, s[0:3], 0 offen offset:4
	v_add_nc_u32_e32 v15, -8, v36
.LBB1_39:                               ;   in Loop: Header=BB1_31 Depth=1
	s_or_b32 exec_lo, exec_lo, s4
	v_add_nc_u32_e32 v8, 8, v14
	s_mov_b32 s5, exec_lo
                                        ; implicit-def: $vgpr12_vgpr13
	v_cmpx_gt_u32_e32 8, v15
	s_xor_b32 s5, exec_lo, s5
	s_cbranch_execz .LBB1_45
; %bb.40:                               ;   in Loop: Header=BB1_31 Depth=1
	v_mov_b32_e32 v12, 0
	v_mov_b32_e32 v13, 0
	s_mov_b32 s12, exec_lo
	v_cmpx_ne_u32_e32 0, v15
	s_cbranch_execz .LBB1_44
; %bb.41:                               ;   in Loop: Header=BB1_31 Depth=1
	v_mov_b32_e32 v12, 0
	v_mov_b32_e32 v13, 0
	s_mov_b64 s[10:11], 0
	s_mov_b32 s13, 0
	s_mov_b32 s16, 0
	.p2align	6
.LBB1_42:                               ;   Parent Loop BB1_31 Depth=1
                                        ; =>  This Inner Loop Header: Depth=2
	v_add_nc_u32_e32 v8, s16, v14
	v_mov_b32_e32 v17, s15
	s_add_i32 s16, s16, 1
	v_cmp_eq_u32_e64 s4, s16, v15
	buffer_load_ubyte v8, v8, s[0:3], 0 offen
	s_waitcnt vmcnt(0)
	v_and_b32_e32 v16, 0xffff, v8
	v_lshlrev_b64 v[16:17], s10, v[16:17]
	s_add_u32 s10, s10, 8
	s_addc_u32 s11, s11, 0
	s_or_b32 s13, s4, s13
	v_or_b32_e32 v13, v17, v13
	v_or_b32_e32 v12, v16, v12
	s_andn2_b32 exec_lo, exec_lo, s13
	s_cbranch_execnz .LBB1_42
; %bb.43:                               ;   in Loop: Header=BB1_31 Depth=1
	s_or_b32 exec_lo, exec_lo, s13
.LBB1_44:                               ;   in Loop: Header=BB1_31 Depth=1
	s_or_b32 exec_lo, exec_lo, s12
	v_mov_b32_e32 v8, v14
                                        ; implicit-def: $vgpr15
.LBB1_45:                               ;   in Loop: Header=BB1_31 Depth=1
	s_or_saveexec_b32 s4, s5
	v_mov_b32_e32 v16, 0
	s_xor_b32 exec_lo, exec_lo, s4
	s_cbranch_execz .LBB1_47
; %bb.46:                               ;   in Loop: Header=BB1_31 Depth=1
	s_clause 0x1
	buffer_load_dword v12, v14, s[0:3], 0 offen
	buffer_load_dword v13, v14, s[0:3], 0 offen offset:4
	v_add_nc_u32_e32 v16, -8, v15
.LBB1_47:                               ;   in Loop: Header=BB1_31 Depth=1
	s_or_b32 exec_lo, exec_lo, s4
	v_add_nc_u32_e32 v18, 8, v8
	s_mov_b32 s5, exec_lo
	v_cmpx_gt_u32_e32 8, v16
	s_xor_b32 s5, exec_lo, s5
	s_cbranch_execz .LBB1_53
; %bb.48:                               ;   in Loop: Header=BB1_31 Depth=1
	v_mov_b32_e32 v14, 0
	v_mov_b32_e32 v15, 0
	s_mov_b32 s12, exec_lo
	v_cmpx_ne_u32_e32 0, v16
	s_cbranch_execz .LBB1_52
; %bb.49:                               ;   in Loop: Header=BB1_31 Depth=1
	v_mov_b32_e32 v14, 0
	v_mov_b32_e32 v15, 0
	s_mov_b64 s[10:11], 0
	s_mov_b32 s13, 0
	s_mov_b32 s16, 0
	.p2align	6
.LBB1_50:                               ;   Parent Loop BB1_31 Depth=1
                                        ; =>  This Inner Loop Header: Depth=2
	v_add_nc_u32_e32 v17, s16, v8
	v_mov_b32_e32 v18, s15
	s_add_i32 s16, s16, 1
	v_cmp_eq_u32_e64 s4, s16, v16
	buffer_load_ubyte v17, v17, s[0:3], 0 offen
	s_waitcnt vmcnt(0)
	v_and_b32_e32 v17, 0xffff, v17
	v_lshlrev_b64 v[17:18], s10, v[17:18]
	s_add_u32 s10, s10, 8
	s_addc_u32 s11, s11, 0
	s_or_b32 s13, s4, s13
	v_or_b32_e32 v15, v18, v15
	v_or_b32_e32 v14, v17, v14
	s_andn2_b32 exec_lo, exec_lo, s13
	s_cbranch_execnz .LBB1_50
; %bb.51:                               ;   in Loop: Header=BB1_31 Depth=1
	s_or_b32 exec_lo, exec_lo, s13
.LBB1_52:                               ;   in Loop: Header=BB1_31 Depth=1
	s_or_b32 exec_lo, exec_lo, s12
	v_mov_b32_e32 v18, v8
                                        ; implicit-def: $vgpr16
.LBB1_53:                               ;   in Loop: Header=BB1_31 Depth=1
	s_or_saveexec_b32 s4, s5
	v_mov_b32_e32 v19, 0
	s_xor_b32 exec_lo, exec_lo, s4
	s_cbranch_execz .LBB1_55
; %bb.54:                               ;   in Loop: Header=BB1_31 Depth=1
	s_clause 0x1
	buffer_load_dword v14, v8, s[0:3], 0 offen
	buffer_load_dword v15, v8, s[0:3], 0 offen offset:4
	v_add_nc_u32_e32 v19, -8, v16
.LBB1_55:                               ;   in Loop: Header=BB1_31 Depth=1
	s_or_b32 exec_lo, exec_lo, s4
	v_add_nc_u32_e32 v8, 8, v18
	s_mov_b32 s5, exec_lo
                                        ; implicit-def: $vgpr16_vgpr17
	v_cmpx_gt_u32_e32 8, v19
	s_xor_b32 s5, exec_lo, s5
	s_cbranch_execz .LBB1_61
; %bb.56:                               ;   in Loop: Header=BB1_31 Depth=1
	v_mov_b32_e32 v16, 0
	v_mov_b32_e32 v17, 0
	s_mov_b32 s12, exec_lo
	v_cmpx_ne_u32_e32 0, v19
	s_cbranch_execz .LBB1_60
; %bb.57:                               ;   in Loop: Header=BB1_31 Depth=1
	v_mov_b32_e32 v16, 0
	v_mov_b32_e32 v17, 0
	s_mov_b64 s[10:11], 0
	s_mov_b32 s13, 0
	s_mov_b32 s16, 0
	.p2align	6
.LBB1_58:                               ;   Parent Loop BB1_31 Depth=1
                                        ; =>  This Inner Loop Header: Depth=2
	v_add_nc_u32_e32 v8, s16, v18
	v_mov_b32_e32 v21, s15
	s_add_i32 s16, s16, 1
	v_cmp_eq_u32_e64 s4, s16, v19
	buffer_load_ubyte v8, v8, s[0:3], 0 offen
	s_waitcnt vmcnt(0)
	v_and_b32_e32 v20, 0xffff, v8
	v_lshlrev_b64 v[20:21], s10, v[20:21]
	s_add_u32 s10, s10, 8
	s_addc_u32 s11, s11, 0
	s_or_b32 s13, s4, s13
	v_or_b32_e32 v17, v21, v17
	v_or_b32_e32 v16, v20, v16
	s_andn2_b32 exec_lo, exec_lo, s13
	s_cbranch_execnz .LBB1_58
; %bb.59:                               ;   in Loop: Header=BB1_31 Depth=1
	s_or_b32 exec_lo, exec_lo, s13
.LBB1_60:                               ;   in Loop: Header=BB1_31 Depth=1
	s_or_b32 exec_lo, exec_lo, s12
	v_mov_b32_e32 v8, v18
                                        ; implicit-def: $vgpr19
.LBB1_61:                               ;   in Loop: Header=BB1_31 Depth=1
	s_or_saveexec_b32 s4, s5
	v_mov_b32_e32 v20, 0
	s_xor_b32 exec_lo, exec_lo, s4
	s_cbranch_execz .LBB1_63
; %bb.62:                               ;   in Loop: Header=BB1_31 Depth=1
	s_clause 0x1
	buffer_load_dword v16, v18, s[0:3], 0 offen
	buffer_load_dword v17, v18, s[0:3], 0 offen offset:4
	v_add_nc_u32_e32 v20, -8, v19
.LBB1_63:                               ;   in Loop: Header=BB1_31 Depth=1
	s_or_b32 exec_lo, exec_lo, s4
	v_add_nc_u32_e32 v22, 8, v8
	s_mov_b32 s5, exec_lo
	v_cmpx_gt_u32_e32 8, v20
	s_xor_b32 s5, exec_lo, s5
	s_cbranch_execz .LBB1_69
; %bb.64:                               ;   in Loop: Header=BB1_31 Depth=1
	v_mov_b32_e32 v18, 0
	v_mov_b32_e32 v19, 0
	s_mov_b32 s12, exec_lo
	v_cmpx_ne_u32_e32 0, v20
	s_cbranch_execz .LBB1_68
; %bb.65:                               ;   in Loop: Header=BB1_31 Depth=1
	v_mov_b32_e32 v18, 0
	v_mov_b32_e32 v19, 0
	s_mov_b64 s[10:11], 0
	s_mov_b32 s13, 0
	s_mov_b32 s16, 0
	.p2align	6
.LBB1_66:                               ;   Parent Loop BB1_31 Depth=1
                                        ; =>  This Inner Loop Header: Depth=2
	v_add_nc_u32_e32 v21, s16, v8
	v_mov_b32_e32 v22, s15
	s_add_i32 s16, s16, 1
	v_cmp_eq_u32_e64 s4, s16, v20
	buffer_load_ubyte v21, v21, s[0:3], 0 offen
	s_waitcnt vmcnt(0)
	v_and_b32_e32 v21, 0xffff, v21
	v_lshlrev_b64 v[21:22], s10, v[21:22]
	s_add_u32 s10, s10, 8
	s_addc_u32 s11, s11, 0
	s_or_b32 s13, s4, s13
	v_or_b32_e32 v19, v22, v19
	v_or_b32_e32 v18, v21, v18
	s_andn2_b32 exec_lo, exec_lo, s13
	s_cbranch_execnz .LBB1_66
; %bb.67:                               ;   in Loop: Header=BB1_31 Depth=1
	s_or_b32 exec_lo, exec_lo, s13
.LBB1_68:                               ;   in Loop: Header=BB1_31 Depth=1
	s_or_b32 exec_lo, exec_lo, s12
	v_mov_b32_e32 v22, v8
                                        ; implicit-def: $vgpr20
.LBB1_69:                               ;   in Loop: Header=BB1_31 Depth=1
	s_or_saveexec_b32 s4, s5
	v_mov_b32_e32 v23, 0
	s_xor_b32 exec_lo, exec_lo, s4
	s_cbranch_execz .LBB1_71
; %bb.70:                               ;   in Loop: Header=BB1_31 Depth=1
	s_clause 0x1
	buffer_load_dword v18, v8, s[0:3], 0 offen
	buffer_load_dword v19, v8, s[0:3], 0 offen offset:4
	v_add_nc_u32_e32 v23, -8, v20
.LBB1_71:                               ;   in Loop: Header=BB1_31 Depth=1
	s_or_b32 exec_lo, exec_lo, s4
	v_add_nc_u32_e32 v8, 8, v22
	s_mov_b32 s5, exec_lo
                                        ; implicit-def: $vgpr20_vgpr21
	v_cmpx_gt_u32_e32 8, v23
	s_xor_b32 s5, exec_lo, s5
	s_cbranch_execz .LBB1_77
; %bb.72:                               ;   in Loop: Header=BB1_31 Depth=1
	v_mov_b32_e32 v20, 0
	v_mov_b32_e32 v21, 0
	s_mov_b32 s12, exec_lo
	v_cmpx_ne_u32_e32 0, v23
	s_cbranch_execz .LBB1_76
; %bb.73:                               ;   in Loop: Header=BB1_31 Depth=1
	v_mov_b32_e32 v20, 0
	v_mov_b32_e32 v21, 0
	s_mov_b64 s[10:11], 0
	s_mov_b32 s13, 0
	s_mov_b32 s16, 0
	.p2align	6
.LBB1_74:                               ;   Parent Loop BB1_31 Depth=1
                                        ; =>  This Inner Loop Header: Depth=2
	v_add_nc_u32_e32 v8, s16, v22
	v_mov_b32_e32 v25, s15
	s_add_i32 s16, s16, 1
	v_cmp_eq_u32_e64 s4, s16, v23
	buffer_load_ubyte v8, v8, s[0:3], 0 offen
	s_waitcnt vmcnt(0)
	v_and_b32_e32 v24, 0xffff, v8
	v_lshlrev_b64 v[24:25], s10, v[24:25]
	s_add_u32 s10, s10, 8
	s_addc_u32 s11, s11, 0
	s_or_b32 s13, s4, s13
	v_or_b32_e32 v21, v25, v21
	v_or_b32_e32 v20, v24, v20
	s_andn2_b32 exec_lo, exec_lo, s13
	s_cbranch_execnz .LBB1_74
; %bb.75:                               ;   in Loop: Header=BB1_31 Depth=1
	s_or_b32 exec_lo, exec_lo, s13
.LBB1_76:                               ;   in Loop: Header=BB1_31 Depth=1
	s_or_b32 exec_lo, exec_lo, s12
	v_mov_b32_e32 v8, v22
                                        ; implicit-def: $vgpr23
.LBB1_77:                               ;   in Loop: Header=BB1_31 Depth=1
	s_or_saveexec_b32 s4, s5
	v_mov_b32_e32 v24, 0
	s_xor_b32 exec_lo, exec_lo, s4
	s_cbranch_execz .LBB1_79
; %bb.78:                               ;   in Loop: Header=BB1_31 Depth=1
	s_clause 0x1
	buffer_load_dword v20, v22, s[0:3], 0 offen
	buffer_load_dword v21, v22, s[0:3], 0 offen offset:4
	v_add_nc_u32_e32 v24, -8, v23
.LBB1_79:                               ;   in Loop: Header=BB1_31 Depth=1
	s_or_b32 exec_lo, exec_lo, s4
	s_mov_b32 s5, exec_lo
	v_cmpx_gt_u32_e32 8, v24
	s_xor_b32 s5, exec_lo, s5
	s_cbranch_execz .LBB1_85
; %bb.80:                               ;   in Loop: Header=BB1_31 Depth=1
	v_mov_b32_e32 v22, 0
	v_mov_b32_e32 v23, 0
	s_mov_b32 s12, exec_lo
	v_cmpx_ne_u32_e32 0, v24
	s_cbranch_execz .LBB1_84
; %bb.81:                               ;   in Loop: Header=BB1_31 Depth=1
	v_mov_b32_e32 v22, 0
	v_mov_b32_e32 v23, 0
	s_mov_b64 s[10:11], 0
	s_mov_b32 s13, 0
	.p2align	6
.LBB1_82:                               ;   Parent Loop BB1_31 Depth=1
                                        ; =>  This Inner Loop Header: Depth=2
	buffer_load_ubyte v25, v8, s[0:3], 0 offen
	v_mov_b32_e32 v26, s15
	v_add_nc_u32_e32 v24, -1, v24
	v_add_nc_u32_e32 v8, 1, v8
	v_cmp_eq_u32_e64 s4, 0, v24
	s_waitcnt vmcnt(0)
	v_and_b32_e32 v25, 0xffff, v25
	v_lshlrev_b64 v[25:26], s10, v[25:26]
	s_add_u32 s10, s10, 8
	s_addc_u32 s11, s11, 0
	s_or_b32 s13, s4, s13
	v_or_b32_e32 v23, v26, v23
	v_or_b32_e32 v22, v25, v22
	s_andn2_b32 exec_lo, exec_lo, s13
	s_cbranch_execnz .LBB1_82
; %bb.83:                               ;   in Loop: Header=BB1_31 Depth=1
	s_or_b32 exec_lo, exec_lo, s13
.LBB1_84:                               ;   in Loop: Header=BB1_31 Depth=1
	s_or_b32 exec_lo, exec_lo, s12
                                        ; implicit-def: $vgpr8
.LBB1_85:                               ;   in Loop: Header=BB1_31 Depth=1
	s_andn2_saveexec_b32 s4, s5
	s_cbranch_execz .LBB1_87
; %bb.86:                               ;   in Loop: Header=BB1_31 Depth=1
	s_clause 0x1
	buffer_load_dword v22, v8, s[0:3], 0 offen
	buffer_load_dword v23, v8, s[0:3], 0 offen offset:4
.LBB1_87:                               ;   in Loop: Header=BB1_31 Depth=1
	s_or_b32 exec_lo, exec_lo, s4
	v_readfirstlane_b32 s4, v32
	v_mov_b32_e32 v30, 0
	v_mov_b32_e32 v31, 0
	v_cmp_eq_u32_e64 s4, s4, v32
	s_and_saveexec_b32 s10, s4
	s_cbranch_execz .LBB1_93
; %bb.88:                               ;   in Loop: Header=BB1_31 Depth=1
	global_load_dwordx2 v[26:27], v9, s[6:7] offset:24 glc dlc
	s_waitcnt vmcnt(0)
	buffer_gl1_inv
	buffer_gl0_inv
	s_clause 0x1
	global_load_dwordx2 v[24:25], v9, s[6:7] offset:40
	global_load_dwordx2 v[30:31], v9, s[6:7]
	s_mov_b32 s11, exec_lo
	s_waitcnt vmcnt(1)
	v_and_b32_e32 v8, v25, v27
	v_and_b32_e32 v24, v24, v26
	v_mul_lo_u32 v8, v8, 24
	v_mul_hi_u32 v25, v24, 24
	v_mul_lo_u32 v24, v24, 24
	v_add_nc_u32_e32 v8, v25, v8
	s_waitcnt vmcnt(0)
	v_add_co_u32 v24, s5, v30, v24
	v_add_co_ci_u32_e64 v25, null, v31, v8, s5
	global_load_dwordx2 v[24:25], v[24:25], off glc dlc
	s_waitcnt vmcnt(0)
	global_atomic_cmpswap_x2 v[30:31], v9, v[24:27], s[6:7] offset:24 glc
	s_waitcnt vmcnt(0)
	buffer_gl1_inv
	buffer_gl0_inv
	v_cmpx_ne_u64_e64 v[30:31], v[26:27]
	s_cbranch_execz .LBB1_92
; %bb.89:                               ;   in Loop: Header=BB1_31 Depth=1
	s_mov_b32 s12, 0
	.p2align	6
.LBB1_90:                               ;   Parent Loop BB1_31 Depth=1
                                        ; =>  This Inner Loop Header: Depth=2
	s_sleep 1
	s_clause 0x1
	global_load_dwordx2 v[24:25], v9, s[6:7] offset:40
	global_load_dwordx2 v[37:38], v9, s[6:7]
	v_mov_b32_e32 v26, v30
	v_mov_b32_e32 v27, v31
	s_waitcnt vmcnt(1)
	v_and_b32_e32 v8, v24, v26
	v_and_b32_e32 v24, v25, v27
	s_waitcnt vmcnt(0)
	v_mad_u64_u32 v[30:31], null, v8, 24, v[37:38]
	v_mov_b32_e32 v8, v31
	v_mad_u64_u32 v[24:25], null, v24, 24, v[8:9]
	v_mov_b32_e32 v31, v24
	global_load_dwordx2 v[24:25], v[30:31], off glc dlc
	s_waitcnt vmcnt(0)
	global_atomic_cmpswap_x2 v[30:31], v9, v[24:27], s[6:7] offset:24 glc
	s_waitcnt vmcnt(0)
	buffer_gl1_inv
	buffer_gl0_inv
	v_cmp_eq_u64_e64 s5, v[30:31], v[26:27]
	s_or_b32 s12, s5, s12
	s_andn2_b32 exec_lo, exec_lo, s12
	s_cbranch_execnz .LBB1_90
; %bb.91:                               ;   in Loop: Header=BB1_31 Depth=1
	s_or_b32 exec_lo, exec_lo, s12
.LBB1_92:                               ;   in Loop: Header=BB1_31 Depth=1
	s_or_b32 exec_lo, exec_lo, s11
.LBB1_93:                               ;   in Loop: Header=BB1_31 Depth=1
	s_or_b32 exec_lo, exec_lo, s10
	s_clause 0x1
	global_load_dwordx2 v[37:38], v9, s[6:7] offset:40
	global_load_dwordx4 v[24:27], v9, s[6:7]
	v_readfirstlane_b32 s11, v31
	v_readfirstlane_b32 s10, v30
	s_mov_b32 s16, exec_lo
	s_waitcnt vmcnt(1)
	v_readfirstlane_b32 s12, v37
	v_readfirstlane_b32 s13, v38
	s_and_b64 s[12:13], s[12:13], s[10:11]
	s_mul_i32 s5, s13, 24
	s_mul_hi_u32 s17, s12, 24
	s_mul_i32 s18, s12, 24
	s_add_i32 s17, s17, s5
	s_waitcnt vmcnt(0)
	v_add_co_u32 v30, s5, v24, s18
	v_add_co_ci_u32_e64 v31, null, s17, v25, s5
	s_and_saveexec_b32 s5, s4
	s_cbranch_execz .LBB1_95
; %bb.94:                               ;   in Loop: Header=BB1_31 Depth=1
	v_mov_b32_e32 v8, s16
	global_store_dwordx4 v[30:31], v[8:11], off offset:8
.LBB1_95:                               ;   in Loop: Header=BB1_31 Depth=1
	s_or_b32 exec_lo, exec_lo, s5
	v_cmp_gt_u64_e64 s5, 57, v[28:29]
	v_and_b32_e32 v0, 0xffffff1f, v0
	s_lshl_b64 s[12:13], s[12:13], 12
	v_cndmask_b32_e64 v8, 0, v34, s5
	v_add_co_u32 v37, s5, v26, s12
	v_add_co_ci_u32_e64 v27, null, s13, v27, s5
	v_lshl_add_u32 v26, v36, 2, 28
	v_or_b32_e32 v0, v0, v8
	v_readfirstlane_b32 s12, v37
	v_readfirstlane_b32 s13, v27
	v_and_or_b32 v0, 0x1e0, v26, v0
	v_cndmask_b32_e32 v26, 0, v29, vcc_lo
	global_store_dwordx4 v33, v[12:15], s[12:13] offset:16
	global_store_dwordx4 v33, v[0:3], s[12:13]
	global_store_dwordx4 v33, v[16:19], s[12:13] offset:32
	global_store_dwordx4 v33, v[20:23], s[12:13] offset:48
	s_and_saveexec_b32 s5, s4
	s_cbranch_execz .LBB1_103
; %bb.96:                               ;   in Loop: Header=BB1_31 Depth=1
	s_clause 0x1
	global_load_dwordx2 v[16:17], v9, s[6:7] offset:32 glc dlc
	global_load_dwordx2 v[0:1], v9, s[6:7] offset:40
	v_mov_b32_e32 v14, s10
	v_mov_b32_e32 v15, s11
	s_waitcnt vmcnt(0)
	v_readfirstlane_b32 s12, v0
	v_readfirstlane_b32 s13, v1
	s_and_b64 s[12:13], s[12:13], s[10:11]
	s_mul_i32 s13, s13, 24
	s_mul_hi_u32 s16, s12, 24
	s_mul_i32 s12, s12, 24
	s_add_i32 s16, s16, s13
	v_add_co_u32 v12, vcc_lo, v24, s12
	v_add_co_ci_u32_e64 v13, null, s16, v25, vcc_lo
	s_mov_b32 s12, exec_lo
	global_store_dwordx2 v[12:13], v[16:17], off
	s_waitcnt_vscnt null, 0x0
	global_atomic_cmpswap_x2 v[2:3], v9, v[14:17], s[6:7] offset:32 glc
	s_waitcnt vmcnt(0)
	v_cmpx_ne_u64_e64 v[2:3], v[16:17]
	s_cbranch_execz .LBB1_99
; %bb.97:                               ;   in Loop: Header=BB1_31 Depth=1
	s_mov_b32 s13, 0
.LBB1_98:                               ;   Parent Loop BB1_31 Depth=1
                                        ; =>  This Inner Loop Header: Depth=2
	v_mov_b32_e32 v0, s10
	v_mov_b32_e32 v1, s11
	s_sleep 1
	global_store_dwordx2 v[12:13], v[2:3], off
	s_waitcnt_vscnt null, 0x0
	global_atomic_cmpswap_x2 v[0:1], v9, v[0:3], s[6:7] offset:32 glc
	s_waitcnt vmcnt(0)
	v_cmp_eq_u64_e32 vcc_lo, v[0:1], v[2:3]
	v_mov_b32_e32 v3, v1
	v_mov_b32_e32 v2, v0
	s_or_b32 s13, vcc_lo, s13
	s_andn2_b32 exec_lo, exec_lo, s13
	s_cbranch_execnz .LBB1_98
.LBB1_99:                               ;   in Loop: Header=BB1_31 Depth=1
	s_or_b32 exec_lo, exec_lo, s12
	global_load_dwordx2 v[0:1], v9, s[6:7] offset:16
	s_mov_b32 s13, exec_lo
	s_mov_b32 s12, exec_lo
	v_mbcnt_lo_u32_b32 v2, s13, 0
	v_cmpx_eq_u32_e32 0, v2
	s_cbranch_execz .LBB1_101
; %bb.100:                              ;   in Loop: Header=BB1_31 Depth=1
	s_bcnt1_i32_b32 s13, s13
	v_mov_b32_e32 v8, s13
	s_waitcnt vmcnt(0)
	global_atomic_add_x2 v[0:1], v[8:9], off offset:8
.LBB1_101:                              ;   in Loop: Header=BB1_31 Depth=1
	s_or_b32 exec_lo, exec_lo, s12
	s_waitcnt vmcnt(0)
	global_load_dwordx2 v[2:3], v[0:1], off offset:16
	s_waitcnt vmcnt(0)
	v_cmp_eq_u64_e32 vcc_lo, 0, v[2:3]
	s_cbranch_vccnz .LBB1_103
; %bb.102:                              ;   in Loop: Header=BB1_31 Depth=1
	global_load_dword v8, v[0:1], off offset:24
	s_waitcnt vmcnt(0)
	v_readfirstlane_b32 s12, v8
	s_waitcnt_vscnt null, 0x0
	global_store_dwordx2 v[2:3], v[8:9], off
	s_and_b32 m0, s12, 0x7fffff
	s_sendmsg sendmsg(MSG_INTERRUPT)
.LBB1_103:                              ;   in Loop: Header=BB1_31 Depth=1
	s_or_b32 exec_lo, exec_lo, s5
	v_add_co_u32 v0, vcc_lo, v37, v33
	v_add_co_ci_u32_e64 v1, null, 0, v27, vcc_lo
	s_branch .LBB1_107
	.p2align	6
.LBB1_104:                              ;   in Loop: Header=BB1_107 Depth=2
	s_or_b32 exec_lo, exec_lo, s5
	v_readfirstlane_b32 s5, v2
	s_cmp_eq_u32 s5, 0
	s_cbranch_scc1 .LBB1_106
; %bb.105:                              ;   in Loop: Header=BB1_107 Depth=2
	s_sleep 1
	s_cbranch_execnz .LBB1_107
	s_branch .LBB1_109
	.p2align	6
.LBB1_106:                              ;   in Loop: Header=BB1_31 Depth=1
	s_branch .LBB1_109
.LBB1_107:                              ;   Parent Loop BB1_31 Depth=1
                                        ; =>  This Inner Loop Header: Depth=2
	v_mov_b32_e32 v2, 1
	s_and_saveexec_b32 s5, s4
	s_cbranch_execz .LBB1_104
; %bb.108:                              ;   in Loop: Header=BB1_107 Depth=2
	global_load_dword v2, v[30:31], off offset:20 glc dlc
	s_waitcnt vmcnt(0)
	buffer_gl1_inv
	buffer_gl0_inv
	v_and_b32_e32 v2, 1, v2
	s_branch .LBB1_104
.LBB1_109:                              ;   in Loop: Header=BB1_31 Depth=1
	global_load_dwordx2 v[0:1], v[0:1], off
	s_and_saveexec_b32 s12, s4
	s_cbranch_execz .LBB1_30
; %bb.110:                              ;   in Loop: Header=BB1_31 Depth=1
	s_clause 0x2
	global_load_dwordx2 v[2:3], v9, s[6:7] offset:40
	global_load_dwordx2 v[16:17], v9, s[6:7] offset:24 glc dlc
	global_load_dwordx2 v[12:13], v9, s[6:7]
	s_waitcnt vmcnt(2)
	v_readfirstlane_b32 s16, v2
	v_readfirstlane_b32 s17, v3
	s_add_u32 s13, s16, 1
	s_addc_u32 s18, s17, 0
	s_add_u32 s4, s13, s10
	s_addc_u32 s5, s18, s11
	s_cmp_eq_u64 s[4:5], 0
	s_cselect_b32 s5, s18, s5
	s_cselect_b32 s4, s13, s4
	v_mov_b32_e32 v15, s5
	s_and_b64 s[10:11], s[4:5], s[16:17]
	v_mov_b32_e32 v14, s4
	s_mul_i32 s11, s11, 24
	s_mul_hi_u32 s13, s10, 24
	s_mul_i32 s10, s10, 24
	s_add_i32 s13, s13, s11
	s_waitcnt vmcnt(0)
	v_add_co_u32 v2, vcc_lo, v12, s10
	v_add_co_ci_u32_e64 v3, null, s13, v13, vcc_lo
	global_store_dwordx2 v[2:3], v[16:17], off
	s_waitcnt_vscnt null, 0x0
	global_atomic_cmpswap_x2 v[14:15], v9, v[14:17], s[6:7] offset:24 glc
	s_waitcnt vmcnt(0)
	v_cmp_ne_u64_e32 vcc_lo, v[14:15], v[16:17]
	s_and_b32 exec_lo, exec_lo, vcc_lo
	s_cbranch_execz .LBB1_30
; %bb.111:                              ;   in Loop: Header=BB1_31 Depth=1
	s_mov_b32 s10, 0
.LBB1_112:                              ;   Parent Loop BB1_31 Depth=1
                                        ; =>  This Inner Loop Header: Depth=2
	v_mov_b32_e32 v12, s4
	v_mov_b32_e32 v13, s5
	s_sleep 1
	global_store_dwordx2 v[2:3], v[14:15], off
	s_waitcnt_vscnt null, 0x0
	global_atomic_cmpswap_x2 v[12:13], v9, v[12:15], s[6:7] offset:24 glc
	s_waitcnt vmcnt(0)
	v_cmp_eq_u64_e32 vcc_lo, v[12:13], v[14:15]
	v_mov_b32_e32 v15, v13
	v_mov_b32_e32 v14, v12
	s_or_b32 s10, vcc_lo, s10
	s_andn2_b32 exec_lo, exec_lo, s10
	s_cbranch_execnz .LBB1_112
	s_branch .LBB1_30
.LBB1_113:
                                        ; implicit-def: $vgpr0_vgpr1
	s_cbranch_execnz .LBB1_115
	s_branch .LBB1_142
.LBB1_114:
	s_or_b32 exec_lo, exec_lo, s14
	s_branch .LBB1_142
.LBB1_115:
	v_readfirstlane_b32 s4, v32
	v_mov_b32_e32 v9, 0
	v_mov_b32_e32 v10, 0
	v_cmp_eq_u32_e64 s4, s4, v32
	s_and_saveexec_b32 s5, s4
	s_cbranch_execz .LBB1_121
; %bb.116:
	s_waitcnt vmcnt(0)
	v_mov_b32_e32 v0, 0
	s_mov_b32 s10, exec_lo
	global_load_dwordx2 v[11:12], v0, s[6:7] offset:24 glc dlc
	s_waitcnt vmcnt(0)
	buffer_gl1_inv
	buffer_gl0_inv
	s_clause 0x1
	global_load_dwordx2 v[1:2], v0, s[6:7] offset:40
	global_load_dwordx2 v[8:9], v0, s[6:7]
	s_waitcnt vmcnt(1)
	v_and_b32_e32 v2, v2, v12
	v_and_b32_e32 v1, v1, v11
	v_mul_lo_u32 v2, v2, 24
	v_mul_hi_u32 v3, v1, 24
	v_mul_lo_u32 v1, v1, 24
	v_add_nc_u32_e32 v2, v3, v2
	s_waitcnt vmcnt(0)
	v_add_co_u32 v1, vcc_lo, v8, v1
	v_add_co_ci_u32_e64 v2, null, v9, v2, vcc_lo
	global_load_dwordx2 v[9:10], v[1:2], off glc dlc
	s_waitcnt vmcnt(0)
	global_atomic_cmpswap_x2 v[9:10], v0, v[9:12], s[6:7] offset:24 glc
	s_waitcnt vmcnt(0)
	buffer_gl1_inv
	buffer_gl0_inv
	v_cmpx_ne_u64_e64 v[9:10], v[11:12]
	s_cbranch_execz .LBB1_120
; %bb.117:
	s_mov_b32 s11, 0
	.p2align	6
.LBB1_118:                              ; =>This Inner Loop Header: Depth=1
	s_sleep 1
	s_clause 0x1
	global_load_dwordx2 v[1:2], v0, s[6:7] offset:40
	global_load_dwordx2 v[13:14], v0, s[6:7]
	v_mov_b32_e32 v12, v10
	v_mov_b32_e32 v11, v9
	s_waitcnt vmcnt(1)
	v_and_b32_e32 v1, v1, v11
	v_and_b32_e32 v2, v2, v12
	s_waitcnt vmcnt(0)
	v_mad_u64_u32 v[8:9], null, v1, 24, v[13:14]
	v_mov_b32_e32 v1, v9
	v_mad_u64_u32 v[1:2], null, v2, 24, v[1:2]
	v_mov_b32_e32 v9, v1
	global_load_dwordx2 v[9:10], v[8:9], off glc dlc
	s_waitcnt vmcnt(0)
	global_atomic_cmpswap_x2 v[9:10], v0, v[9:12], s[6:7] offset:24 glc
	s_waitcnt vmcnt(0)
	buffer_gl1_inv
	buffer_gl0_inv
	v_cmp_eq_u64_e32 vcc_lo, v[9:10], v[11:12]
	s_or_b32 s11, vcc_lo, s11
	s_andn2_b32 exec_lo, exec_lo, s11
	s_cbranch_execnz .LBB1_118
; %bb.119:
	s_or_b32 exec_lo, exec_lo, s11
.LBB1_120:
	s_or_b32 exec_lo, exec_lo, s10
.LBB1_121:
	s_or_b32 exec_lo, exec_lo, s5
	v_mov_b32_e32 v8, 0
	v_readfirstlane_b32 s11, v10
	v_readfirstlane_b32 s10, v9
	s_mov_b32 s5, exec_lo
	s_clause 0x1
	global_load_dwordx2 v[11:12], v8, s[6:7] offset:40
	global_load_dwordx4 v[0:3], v8, s[6:7]
	s_waitcnt vmcnt(1)
	v_readfirstlane_b32 s12, v11
	v_readfirstlane_b32 s13, v12
	s_and_b64 s[12:13], s[12:13], s[10:11]
	s_mul_i32 s14, s13, 24
	s_mul_hi_u32 s15, s12, 24
	s_mul_i32 s16, s12, 24
	s_add_i32 s15, s15, s14
	s_waitcnt vmcnt(0)
	v_add_co_u32 v10, vcc_lo, v0, s16
	v_add_co_ci_u32_e64 v11, null, s15, v1, vcc_lo
	s_and_saveexec_b32 s14, s4
	s_cbranch_execz .LBB1_123
; %bb.122:
	v_mov_b32_e32 v12, s5
	v_mov_b32_e32 v13, v8
	;; [unrolled: 1-line block ×4, first 2 shown]
	global_store_dwordx4 v[10:11], v[12:15], off offset:8
.LBB1_123:
	s_or_b32 exec_lo, exec_lo, s14
	s_lshl_b64 s[12:13], s[12:13], 12
	v_and_or_b32 v6, 0xffffff1f, v6, 32
	v_add_co_u32 v2, vcc_lo, v2, s12
	v_add_co_ci_u32_e64 v3, null, s13, v3, vcc_lo
	s_mov_b32 s12, 0
	v_add_co_u32 v12, vcc_lo, v2, v33
	s_mov_b32 s15, s12
	s_mov_b32 s13, s12
	;; [unrolled: 1-line block ×3, first 2 shown]
	v_mov_b32_e32 v9, v8
	v_readfirstlane_b32 s16, v2
	v_readfirstlane_b32 s17, v3
	v_mov_b32_e32 v17, s15
	v_add_co_ci_u32_e64 v13, null, 0, v3, vcc_lo
	v_mov_b32_e32 v16, s14
	v_mov_b32_e32 v15, s13
	;; [unrolled: 1-line block ×3, first 2 shown]
	global_store_dwordx4 v33, v[6:9], s[16:17]
	global_store_dwordx4 v33, v[14:17], s[16:17] offset:16
	global_store_dwordx4 v33, v[14:17], s[16:17] offset:32
	;; [unrolled: 1-line block ×3, first 2 shown]
	s_and_saveexec_b32 s5, s4
	s_cbranch_execz .LBB1_131
; %bb.124:
	v_mov_b32_e32 v8, 0
	v_mov_b32_e32 v14, s10
	;; [unrolled: 1-line block ×3, first 2 shown]
	s_clause 0x1
	global_load_dwordx2 v[16:17], v8, s[6:7] offset:32 glc dlc
	global_load_dwordx2 v[2:3], v8, s[6:7] offset:40
	s_waitcnt vmcnt(0)
	v_readfirstlane_b32 s12, v2
	v_readfirstlane_b32 s13, v3
	s_and_b64 s[12:13], s[12:13], s[10:11]
	s_mul_i32 s13, s13, 24
	s_mul_hi_u32 s14, s12, 24
	s_mul_i32 s12, s12, 24
	s_add_i32 s14, s14, s13
	v_add_co_u32 v6, vcc_lo, v0, s12
	v_add_co_ci_u32_e64 v7, null, s14, v1, vcc_lo
	s_mov_b32 s12, exec_lo
	global_store_dwordx2 v[6:7], v[16:17], off
	s_waitcnt_vscnt null, 0x0
	global_atomic_cmpswap_x2 v[2:3], v8, v[14:17], s[6:7] offset:32 glc
	s_waitcnt vmcnt(0)
	v_cmpx_ne_u64_e64 v[2:3], v[16:17]
	s_cbranch_execz .LBB1_127
; %bb.125:
	s_mov_b32 s13, 0
.LBB1_126:                              ; =>This Inner Loop Header: Depth=1
	v_mov_b32_e32 v0, s10
	v_mov_b32_e32 v1, s11
	s_sleep 1
	global_store_dwordx2 v[6:7], v[2:3], off
	s_waitcnt_vscnt null, 0x0
	global_atomic_cmpswap_x2 v[0:1], v8, v[0:3], s[6:7] offset:32 glc
	s_waitcnt vmcnt(0)
	v_cmp_eq_u64_e32 vcc_lo, v[0:1], v[2:3]
	v_mov_b32_e32 v3, v1
	v_mov_b32_e32 v2, v0
	s_or_b32 s13, vcc_lo, s13
	s_andn2_b32 exec_lo, exec_lo, s13
	s_cbranch_execnz .LBB1_126
.LBB1_127:
	s_or_b32 exec_lo, exec_lo, s12
	v_mov_b32_e32 v3, 0
	s_mov_b32 s13, exec_lo
	s_mov_b32 s12, exec_lo
	v_mbcnt_lo_u32_b32 v2, s13, 0
	global_load_dwordx2 v[0:1], v3, s[6:7] offset:16
	v_cmpx_eq_u32_e32 0, v2
	s_cbranch_execz .LBB1_129
; %bb.128:
	s_bcnt1_i32_b32 s13, s13
	v_mov_b32_e32 v2, s13
	s_waitcnt vmcnt(0)
	global_atomic_add_x2 v[0:1], v[2:3], off offset:8
.LBB1_129:
	s_or_b32 exec_lo, exec_lo, s12
	s_waitcnt vmcnt(0)
	global_load_dwordx2 v[2:3], v[0:1], off offset:16
	s_waitcnt vmcnt(0)
	v_cmp_eq_u64_e32 vcc_lo, 0, v[2:3]
	s_cbranch_vccnz .LBB1_131
; %bb.130:
	global_load_dword v0, v[0:1], off offset:24
	v_mov_b32_e32 v1, 0
	s_waitcnt vmcnt(0)
	v_readfirstlane_b32 s12, v0
	s_waitcnt_vscnt null, 0x0
	global_store_dwordx2 v[2:3], v[0:1], off
	s_and_b32 m0, s12, 0x7fffff
	s_sendmsg sendmsg(MSG_INTERRUPT)
.LBB1_131:
	s_or_b32 exec_lo, exec_lo, s5
	s_branch .LBB1_135
	.p2align	6
.LBB1_132:                              ;   in Loop: Header=BB1_135 Depth=1
	s_or_b32 exec_lo, exec_lo, s5
	v_readfirstlane_b32 s5, v0
	s_cmp_eq_u32 s5, 0
	s_cbranch_scc1 .LBB1_134
; %bb.133:                              ;   in Loop: Header=BB1_135 Depth=1
	s_sleep 1
	s_cbranch_execnz .LBB1_135
	s_branch .LBB1_137
	.p2align	6
.LBB1_134:
	s_branch .LBB1_137
.LBB1_135:                              ; =>This Inner Loop Header: Depth=1
	v_mov_b32_e32 v0, 1
	s_and_saveexec_b32 s5, s4
	s_cbranch_execz .LBB1_132
; %bb.136:                              ;   in Loop: Header=BB1_135 Depth=1
	global_load_dword v0, v[10:11], off offset:20 glc dlc
	s_waitcnt vmcnt(0)
	buffer_gl1_inv
	buffer_gl0_inv
	v_and_b32_e32 v0, 1, v0
	s_branch .LBB1_132
.LBB1_137:
	global_load_dwordx2 v[0:1], v[12:13], off
	s_and_saveexec_b32 s12, s4
	s_cbranch_execz .LBB1_141
; %bb.138:
	v_mov_b32_e32 v10, 0
	s_clause 0x2
	global_load_dwordx2 v[2:3], v10, s[6:7] offset:40
	global_load_dwordx2 v[13:14], v10, s[6:7] offset:24 glc dlc
	global_load_dwordx2 v[6:7], v10, s[6:7]
	s_waitcnt vmcnt(2)
	v_readfirstlane_b32 s14, v2
	v_readfirstlane_b32 s15, v3
	s_add_u32 s13, s14, 1
	s_addc_u32 s16, s15, 0
	s_add_u32 s4, s13, s10
	s_addc_u32 s5, s16, s11
	s_cmp_eq_u64 s[4:5], 0
	s_cselect_b32 s5, s16, s5
	s_cselect_b32 s4, s13, s4
	v_mov_b32_e32 v12, s5
	s_and_b64 s[10:11], s[4:5], s[14:15]
	v_mov_b32_e32 v11, s4
	s_mul_i32 s11, s11, 24
	s_mul_hi_u32 s13, s10, 24
	s_mul_i32 s10, s10, 24
	s_add_i32 s13, s13, s11
	s_waitcnt vmcnt(0)
	v_add_co_u32 v2, vcc_lo, v6, s10
	v_add_co_ci_u32_e64 v3, null, s13, v7, vcc_lo
	global_store_dwordx2 v[2:3], v[13:14], off
	s_waitcnt_vscnt null, 0x0
	global_atomic_cmpswap_x2 v[8:9], v10, v[11:14], s[6:7] offset:24 glc
	s_waitcnt vmcnt(0)
	v_cmp_ne_u64_e32 vcc_lo, v[8:9], v[13:14]
	s_and_b32 exec_lo, exec_lo, vcc_lo
	s_cbranch_execz .LBB1_141
; %bb.139:
	s_mov_b32 s10, 0
.LBB1_140:                              ; =>This Inner Loop Header: Depth=1
	v_mov_b32_e32 v6, s4
	v_mov_b32_e32 v7, s5
	s_sleep 1
	global_store_dwordx2 v[2:3], v[8:9], off
	s_waitcnt_vscnt null, 0x0
	global_atomic_cmpswap_x2 v[6:7], v10, v[6:9], s[6:7] offset:24 glc
	s_waitcnt vmcnt(0)
	v_cmp_eq_u64_e32 vcc_lo, v[6:7], v[8:9]
	v_mov_b32_e32 v9, v7
	v_mov_b32_e32 v8, v6
	s_or_b32 s10, vcc_lo, s10
	s_andn2_b32 exec_lo, exec_lo, s10
	s_cbranch_execnz .LBB1_140
.LBB1_141:
	s_or_b32 exec_lo, exec_lo, s12
.LBB1_142:
	s_getpc_b64 s[10:11]
	s_add_u32 s10, s10, .str.4@rel32@lo+4
	s_addc_u32 s11, s11, .str.4@rel32@hi+12
	s_cmp_lg_u64 s[10:11], 0
	s_cbranch_scc0 .LBB1_220
; %bb.143:
	s_getpc_b64 s[4:5]
	s_add_u32 s4, s4, .str.4@rel32@lo+80
	s_addc_u32 s5, s5, .str.4@rel32@hi+88
	s_waitcnt vmcnt(0)
	v_and_b32_e32 v30, 2, v0
	v_mov_b32_e32 v11, 0
	v_and_b32_e32 v6, -3, v0
	v_mov_b32_e32 v7, v1
	v_mov_b32_e32 v12, 2
	;; [unrolled: 1-line block ×3, first 2 shown]
	s_sub_i32 s12, s4, s10
	s_ashr_i32 s13, s12, 31
	s_branch .LBB1_145
.LBB1_144:                              ;   in Loop: Header=BB1_145 Depth=1
	s_or_b32 exec_lo, exec_lo, s18
	s_sub_u32 s12, s12, s14
	s_subb_u32 s13, s13, s15
	s_add_u32 s10, s10, s14
	s_addc_u32 s11, s11, s15
	s_cmp_lg_u64 s[12:13], 0
	s_cbranch_scc0 .LBB1_221
.LBB1_145:                              ; =>This Loop Header: Depth=1
                                        ;     Child Loop BB1_148 Depth 2
                                        ;     Child Loop BB1_155 Depth 2
                                        ;     Child Loop BB1_162 Depth 2
                                        ;     Child Loop BB1_169 Depth 2
                                        ;     Child Loop BB1_176 Depth 2
                                        ;     Child Loop BB1_183 Depth 2
                                        ;     Child Loop BB1_190 Depth 2
                                        ;     Child Loop BB1_197 Depth 2
                                        ;     Child Loop BB1_205 Depth 2
                                        ;     Child Loop BB1_214 Depth 2
                                        ;     Child Loop BB1_219 Depth 2
	v_cmp_lt_u64_e64 s4, s[12:13], 56
	v_cmp_gt_u64_e64 s16, s[12:13], 7
	s_and_b32 s4, s4, exec_lo
	s_cselect_b32 s15, s13, 0
	s_cselect_b32 s14, s12, 56
	s_add_u32 s4, s10, 8
	s_addc_u32 s5, s11, 0
	s_and_b32 vcc_lo, exec_lo, s16
	s_cbranch_vccnz .LBB1_150
; %bb.146:                              ;   in Loop: Header=BB1_145 Depth=1
	v_mov_b32_e32 v8, 0
	v_mov_b32_e32 v9, 0
	s_cmp_eq_u64 s[12:13], 0
	s_cbranch_scc1 .LBB1_149
; %bb.147:                              ;   in Loop: Header=BB1_145 Depth=1
	s_lshl_b64 s[4:5], s[14:15], 3
	s_mov_b64 s[16:17], 0
	s_mov_b64 s[18:19], s[10:11]
.LBB1_148:                              ;   Parent Loop BB1_145 Depth=1
                                        ; =>  This Inner Loop Header: Depth=2
	global_load_ubyte v2, v11, s[18:19]
	s_waitcnt vmcnt(0)
	v_and_b32_e32 v10, 0xffff, v2
	v_lshlrev_b64 v[2:3], s16, v[10:11]
	s_add_u32 s16, s16, 8
	s_addc_u32 s17, s17, 0
	s_add_u32 s18, s18, 1
	s_addc_u32 s19, s19, 0
	s_cmp_lg_u32 s4, s16
	v_or_b32_e32 v8, v2, v8
	v_or_b32_e32 v9, v3, v9
	s_cbranch_scc1 .LBB1_148
.LBB1_149:                              ;   in Loop: Header=BB1_145 Depth=1
	s_mov_b64 s[4:5], s[10:11]
	s_mov_b32 s20, 0
	s_cbranch_execz .LBB1_151
	s_branch .LBB1_152
.LBB1_150:                              ;   in Loop: Header=BB1_145 Depth=1
	s_mov_b32 s20, 0
.LBB1_151:                              ;   in Loop: Header=BB1_145 Depth=1
	global_load_dwordx2 v[8:9], v11, s[10:11]
	s_add_i32 s20, s14, -8
.LBB1_152:                              ;   in Loop: Header=BB1_145 Depth=1
	s_add_u32 s16, s4, 8
	s_addc_u32 s17, s5, 0
	s_cmp_gt_u32 s20, 7
	s_cbranch_scc1 .LBB1_157
; %bb.153:                              ;   in Loop: Header=BB1_145 Depth=1
	v_mov_b32_e32 v14, 0
	v_mov_b32_e32 v15, 0
	s_cmp_eq_u32 s20, 0
	s_cbranch_scc1 .LBB1_156
; %bb.154:                              ;   in Loop: Header=BB1_145 Depth=1
	s_mov_b64 s[16:17], 0
	s_mov_b64 s[18:19], 0
.LBB1_155:                              ;   Parent Loop BB1_145 Depth=1
                                        ; =>  This Inner Loop Header: Depth=2
	s_add_u32 s22, s4, s18
	s_addc_u32 s23, s5, s19
	s_add_u32 s18, s18, 1
	global_load_ubyte v2, v11, s[22:23]
	s_addc_u32 s19, s19, 0
	s_waitcnt vmcnt(0)
	v_and_b32_e32 v10, 0xffff, v2
	v_lshlrev_b64 v[2:3], s16, v[10:11]
	s_add_u32 s16, s16, 8
	s_addc_u32 s17, s17, 0
	s_cmp_lg_u32 s20, s18
	v_or_b32_e32 v14, v2, v14
	v_or_b32_e32 v15, v3, v15
	s_cbranch_scc1 .LBB1_155
.LBB1_156:                              ;   in Loop: Header=BB1_145 Depth=1
	s_mov_b64 s[16:17], s[4:5]
	s_mov_b32 s21, 0
	s_cbranch_execz .LBB1_158
	s_branch .LBB1_159
.LBB1_157:                              ;   in Loop: Header=BB1_145 Depth=1
                                        ; implicit-def: $vgpr14_vgpr15
	s_mov_b32 s21, 0
.LBB1_158:                              ;   in Loop: Header=BB1_145 Depth=1
	global_load_dwordx2 v[14:15], v11, s[4:5]
	s_add_i32 s21, s20, -8
.LBB1_159:                              ;   in Loop: Header=BB1_145 Depth=1
	s_add_u32 s4, s16, 8
	s_addc_u32 s5, s17, 0
	s_cmp_gt_u32 s21, 7
	s_cbranch_scc1 .LBB1_164
; %bb.160:                              ;   in Loop: Header=BB1_145 Depth=1
	v_mov_b32_e32 v16, 0
	v_mov_b32_e32 v17, 0
	s_cmp_eq_u32 s21, 0
	s_cbranch_scc1 .LBB1_163
; %bb.161:                              ;   in Loop: Header=BB1_145 Depth=1
	s_mov_b64 s[4:5], 0
	s_mov_b64 s[18:19], 0
.LBB1_162:                              ;   Parent Loop BB1_145 Depth=1
                                        ; =>  This Inner Loop Header: Depth=2
	s_add_u32 s22, s16, s18
	s_addc_u32 s23, s17, s19
	s_add_u32 s18, s18, 1
	global_load_ubyte v2, v11, s[22:23]
	s_addc_u32 s19, s19, 0
	s_waitcnt vmcnt(0)
	v_and_b32_e32 v10, 0xffff, v2
	v_lshlrev_b64 v[2:3], s4, v[10:11]
	s_add_u32 s4, s4, 8
	s_addc_u32 s5, s5, 0
	s_cmp_lg_u32 s21, s18
	v_or_b32_e32 v16, v2, v16
	v_or_b32_e32 v17, v3, v17
	s_cbranch_scc1 .LBB1_162
.LBB1_163:                              ;   in Loop: Header=BB1_145 Depth=1
	s_mov_b64 s[4:5], s[16:17]
	s_mov_b32 s20, 0
	s_cbranch_execz .LBB1_165
	s_branch .LBB1_166
.LBB1_164:                              ;   in Loop: Header=BB1_145 Depth=1
	s_mov_b32 s20, 0
.LBB1_165:                              ;   in Loop: Header=BB1_145 Depth=1
	global_load_dwordx2 v[16:17], v11, s[16:17]
	s_add_i32 s20, s21, -8
.LBB1_166:                              ;   in Loop: Header=BB1_145 Depth=1
	s_add_u32 s16, s4, 8
	s_addc_u32 s17, s5, 0
	s_cmp_gt_u32 s20, 7
	s_cbranch_scc1 .LBB1_171
; %bb.167:                              ;   in Loop: Header=BB1_145 Depth=1
	v_mov_b32_e32 v18, 0
	v_mov_b32_e32 v19, 0
	s_cmp_eq_u32 s20, 0
	s_cbranch_scc1 .LBB1_170
; %bb.168:                              ;   in Loop: Header=BB1_145 Depth=1
	s_mov_b64 s[16:17], 0
	s_mov_b64 s[18:19], 0
.LBB1_169:                              ;   Parent Loop BB1_145 Depth=1
                                        ; =>  This Inner Loop Header: Depth=2
	s_add_u32 s22, s4, s18
	s_addc_u32 s23, s5, s19
	s_add_u32 s18, s18, 1
	global_load_ubyte v2, v11, s[22:23]
	s_addc_u32 s19, s19, 0
	s_waitcnt vmcnt(0)
	v_and_b32_e32 v10, 0xffff, v2
	v_lshlrev_b64 v[2:3], s16, v[10:11]
	s_add_u32 s16, s16, 8
	s_addc_u32 s17, s17, 0
	s_cmp_lg_u32 s20, s18
	v_or_b32_e32 v18, v2, v18
	v_or_b32_e32 v19, v3, v19
	s_cbranch_scc1 .LBB1_169
.LBB1_170:                              ;   in Loop: Header=BB1_145 Depth=1
	s_mov_b64 s[16:17], s[4:5]
	s_mov_b32 s21, 0
	s_cbranch_execz .LBB1_172
	s_branch .LBB1_173
.LBB1_171:                              ;   in Loop: Header=BB1_145 Depth=1
                                        ; implicit-def: $vgpr18_vgpr19
	s_mov_b32 s21, 0
.LBB1_172:                              ;   in Loop: Header=BB1_145 Depth=1
	global_load_dwordx2 v[18:19], v11, s[4:5]
	s_add_i32 s21, s20, -8
.LBB1_173:                              ;   in Loop: Header=BB1_145 Depth=1
	s_add_u32 s4, s16, 8
	s_addc_u32 s5, s17, 0
	s_cmp_gt_u32 s21, 7
	s_cbranch_scc1 .LBB1_178
; %bb.174:                              ;   in Loop: Header=BB1_145 Depth=1
	v_mov_b32_e32 v20, 0
	v_mov_b32_e32 v21, 0
	s_cmp_eq_u32 s21, 0
	s_cbranch_scc1 .LBB1_177
; %bb.175:                              ;   in Loop: Header=BB1_145 Depth=1
	s_mov_b64 s[4:5], 0
	s_mov_b64 s[18:19], 0
.LBB1_176:                              ;   Parent Loop BB1_145 Depth=1
                                        ; =>  This Inner Loop Header: Depth=2
	s_add_u32 s22, s16, s18
	s_addc_u32 s23, s17, s19
	s_add_u32 s18, s18, 1
	global_load_ubyte v2, v11, s[22:23]
	s_addc_u32 s19, s19, 0
	s_waitcnt vmcnt(0)
	v_and_b32_e32 v10, 0xffff, v2
	v_lshlrev_b64 v[2:3], s4, v[10:11]
	s_add_u32 s4, s4, 8
	s_addc_u32 s5, s5, 0
	s_cmp_lg_u32 s21, s18
	v_or_b32_e32 v20, v2, v20
	v_or_b32_e32 v21, v3, v21
	s_cbranch_scc1 .LBB1_176
.LBB1_177:                              ;   in Loop: Header=BB1_145 Depth=1
	s_mov_b64 s[4:5], s[16:17]
	s_mov_b32 s20, 0
	s_cbranch_execz .LBB1_179
	s_branch .LBB1_180
.LBB1_178:                              ;   in Loop: Header=BB1_145 Depth=1
	s_mov_b32 s20, 0
.LBB1_179:                              ;   in Loop: Header=BB1_145 Depth=1
	global_load_dwordx2 v[20:21], v11, s[16:17]
	s_add_i32 s20, s21, -8
.LBB1_180:                              ;   in Loop: Header=BB1_145 Depth=1
	s_add_u32 s16, s4, 8
	s_addc_u32 s17, s5, 0
	s_cmp_gt_u32 s20, 7
	s_cbranch_scc1 .LBB1_185
; %bb.181:                              ;   in Loop: Header=BB1_145 Depth=1
	v_mov_b32_e32 v22, 0
	v_mov_b32_e32 v23, 0
	s_cmp_eq_u32 s20, 0
	s_cbranch_scc1 .LBB1_184
; %bb.182:                              ;   in Loop: Header=BB1_145 Depth=1
	s_mov_b64 s[16:17], 0
	s_mov_b64 s[18:19], 0
.LBB1_183:                              ;   Parent Loop BB1_145 Depth=1
                                        ; =>  This Inner Loop Header: Depth=2
	s_add_u32 s22, s4, s18
	s_addc_u32 s23, s5, s19
	s_add_u32 s18, s18, 1
	global_load_ubyte v2, v11, s[22:23]
	s_addc_u32 s19, s19, 0
	s_waitcnt vmcnt(0)
	v_and_b32_e32 v10, 0xffff, v2
	v_lshlrev_b64 v[2:3], s16, v[10:11]
	s_add_u32 s16, s16, 8
	s_addc_u32 s17, s17, 0
	s_cmp_lg_u32 s20, s18
	v_or_b32_e32 v22, v2, v22
	v_or_b32_e32 v23, v3, v23
	s_cbranch_scc1 .LBB1_183
.LBB1_184:                              ;   in Loop: Header=BB1_145 Depth=1
	s_mov_b64 s[16:17], s[4:5]
	s_mov_b32 s21, 0
	s_cbranch_execz .LBB1_186
	s_branch .LBB1_187
.LBB1_185:                              ;   in Loop: Header=BB1_145 Depth=1
                                        ; implicit-def: $vgpr22_vgpr23
	s_mov_b32 s21, 0
.LBB1_186:                              ;   in Loop: Header=BB1_145 Depth=1
	global_load_dwordx2 v[22:23], v11, s[4:5]
	s_add_i32 s21, s20, -8
.LBB1_187:                              ;   in Loop: Header=BB1_145 Depth=1
	s_cmp_gt_u32 s21, 7
	s_cbranch_scc1 .LBB1_192
; %bb.188:                              ;   in Loop: Header=BB1_145 Depth=1
	v_mov_b32_e32 v24, 0
	v_mov_b32_e32 v25, 0
	s_cmp_eq_u32 s21, 0
	s_cbranch_scc1 .LBB1_191
; %bb.189:                              ;   in Loop: Header=BB1_145 Depth=1
	s_mov_b64 s[4:5], 0
	s_mov_b64 s[18:19], s[16:17]
.LBB1_190:                              ;   Parent Loop BB1_145 Depth=1
                                        ; =>  This Inner Loop Header: Depth=2
	global_load_ubyte v2, v11, s[18:19]
	s_add_i32 s21, s21, -1
	s_waitcnt vmcnt(0)
	v_and_b32_e32 v10, 0xffff, v2
	v_lshlrev_b64 v[2:3], s4, v[10:11]
	s_add_u32 s4, s4, 8
	s_addc_u32 s5, s5, 0
	s_add_u32 s18, s18, 1
	s_addc_u32 s19, s19, 0
	s_cmp_lg_u32 s21, 0
	v_or_b32_e32 v24, v2, v24
	v_or_b32_e32 v25, v3, v25
	s_cbranch_scc1 .LBB1_190
.LBB1_191:                              ;   in Loop: Header=BB1_145 Depth=1
	s_cbranch_execz .LBB1_193
	s_branch .LBB1_194
.LBB1_192:                              ;   in Loop: Header=BB1_145 Depth=1
.LBB1_193:                              ;   in Loop: Header=BB1_145 Depth=1
	global_load_dwordx2 v[24:25], v11, s[16:17]
.LBB1_194:                              ;   in Loop: Header=BB1_145 Depth=1
	v_readfirstlane_b32 s4, v32
	v_mov_b32_e32 v2, 0
	v_mov_b32_e32 v3, 0
	v_cmp_eq_u32_e64 s4, s4, v32
	s_and_saveexec_b32 s5, s4
	s_cbranch_execz .LBB1_200
; %bb.195:                              ;   in Loop: Header=BB1_145 Depth=1
	global_load_dwordx2 v[28:29], v11, s[6:7] offset:24 glc dlc
	s_waitcnt vmcnt(0)
	buffer_gl1_inv
	buffer_gl0_inv
	s_clause 0x1
	global_load_dwordx2 v[2:3], v11, s[6:7] offset:40
	global_load_dwordx2 v[26:27], v11, s[6:7]
	s_mov_b32 s16, exec_lo
	s_waitcnt vmcnt(1)
	v_and_b32_e32 v3, v3, v29
	v_and_b32_e32 v2, v2, v28
	v_mul_lo_u32 v3, v3, 24
	v_mul_hi_u32 v10, v2, 24
	v_mul_lo_u32 v2, v2, 24
	v_add_nc_u32_e32 v3, v10, v3
	s_waitcnt vmcnt(0)
	v_add_co_u32 v2, vcc_lo, v26, v2
	v_add_co_ci_u32_e64 v3, null, v27, v3, vcc_lo
	global_load_dwordx2 v[26:27], v[2:3], off glc dlc
	s_waitcnt vmcnt(0)
	global_atomic_cmpswap_x2 v[2:3], v11, v[26:29], s[6:7] offset:24 glc
	s_waitcnt vmcnt(0)
	buffer_gl1_inv
	buffer_gl0_inv
	v_cmpx_ne_u64_e64 v[2:3], v[28:29]
	s_cbranch_execz .LBB1_199
; %bb.196:                              ;   in Loop: Header=BB1_145 Depth=1
	s_mov_b32 s17, 0
	.p2align	6
.LBB1_197:                              ;   Parent Loop BB1_145 Depth=1
                                        ; =>  This Inner Loop Header: Depth=2
	s_sleep 1
	s_clause 0x1
	global_load_dwordx2 v[26:27], v11, s[6:7] offset:40
	global_load_dwordx2 v[34:35], v11, s[6:7]
	v_mov_b32_e32 v29, v3
	v_mov_b32_e32 v28, v2
	s_waitcnt vmcnt(1)
	v_and_b32_e32 v2, v26, v28
	v_and_b32_e32 v10, v27, v29
	s_waitcnt vmcnt(0)
	v_mad_u64_u32 v[2:3], null, v2, 24, v[34:35]
	v_mad_u64_u32 v[26:27], null, v10, 24, v[3:4]
	v_mov_b32_e32 v3, v26
	global_load_dwordx2 v[26:27], v[2:3], off glc dlc
	s_waitcnt vmcnt(0)
	global_atomic_cmpswap_x2 v[2:3], v11, v[26:29], s[6:7] offset:24 glc
	s_waitcnt vmcnt(0)
	buffer_gl1_inv
	buffer_gl0_inv
	v_cmp_eq_u64_e32 vcc_lo, v[2:3], v[28:29]
	s_or_b32 s17, vcc_lo, s17
	s_andn2_b32 exec_lo, exec_lo, s17
	s_cbranch_execnz .LBB1_197
; %bb.198:                              ;   in Loop: Header=BB1_145 Depth=1
	s_or_b32 exec_lo, exec_lo, s17
.LBB1_199:                              ;   in Loop: Header=BB1_145 Depth=1
	s_or_b32 exec_lo, exec_lo, s16
.LBB1_200:                              ;   in Loop: Header=BB1_145 Depth=1
	s_or_b32 exec_lo, exec_lo, s5
	s_clause 0x1
	global_load_dwordx2 v[34:35], v11, s[6:7] offset:40
	global_load_dwordx4 v[26:29], v11, s[6:7]
	v_readfirstlane_b32 s17, v3
	v_readfirstlane_b32 s16, v2
	s_mov_b32 s5, exec_lo
	s_waitcnt vmcnt(1)
	v_readfirstlane_b32 s18, v34
	v_readfirstlane_b32 s19, v35
	s_and_b64 s[18:19], s[18:19], s[16:17]
	s_mul_i32 s20, s19, 24
	s_mul_hi_u32 s21, s18, 24
	s_mul_i32 s22, s18, 24
	s_add_i32 s21, s21, s20
	s_waitcnt vmcnt(0)
	v_add_co_u32 v2, vcc_lo, v26, s22
	v_add_co_ci_u32_e64 v3, null, s21, v27, vcc_lo
	s_and_saveexec_b32 s20, s4
	s_cbranch_execz .LBB1_202
; %bb.201:                              ;   in Loop: Header=BB1_145 Depth=1
	v_mov_b32_e32 v10, s5
	global_store_dwordx4 v[2:3], v[10:13], off offset:8
.LBB1_202:                              ;   in Loop: Header=BB1_145 Depth=1
	s_or_b32 exec_lo, exec_lo, s20
	v_cmp_lt_u64_e64 vcc_lo, s[12:13], 57
	s_lshl_b64 s[18:19], s[18:19], 12
	v_and_b32_e32 v6, 0xffffff1f, v6
	s_lshl_b32 s5, s14, 2
	s_add_i32 s5, s5, 28
	v_cndmask_b32_e32 v10, 0, v30, vcc_lo
	v_add_co_u32 v28, vcc_lo, v28, s18
	v_add_co_ci_u32_e64 v29, null, s19, v29, vcc_lo
	v_or_b32_e32 v6, v6, v10
	v_readfirstlane_b32 s18, v28
	v_readfirstlane_b32 s19, v29
	v_and_or_b32 v6, 0x1e0, s5, v6
	global_store_dwordx4 v33, v[14:17], s[18:19] offset:16
	global_store_dwordx4 v33, v[6:9], s[18:19]
	global_store_dwordx4 v33, v[18:21], s[18:19] offset:32
	global_store_dwordx4 v33, v[22:25], s[18:19] offset:48
	s_and_saveexec_b32 s5, s4
	s_cbranch_execz .LBB1_210
; %bb.203:                              ;   in Loop: Header=BB1_145 Depth=1
	s_clause 0x1
	global_load_dwordx2 v[18:19], v11, s[6:7] offset:32 glc dlc
	global_load_dwordx2 v[6:7], v11, s[6:7] offset:40
	v_mov_b32_e32 v16, s16
	v_mov_b32_e32 v17, s17
	s_waitcnt vmcnt(0)
	v_readfirstlane_b32 s18, v6
	v_readfirstlane_b32 s19, v7
	s_and_b64 s[18:19], s[18:19], s[16:17]
	s_mul_i32 s19, s19, 24
	s_mul_hi_u32 s20, s18, 24
	s_mul_i32 s18, s18, 24
	s_add_i32 s20, s20, s19
	v_add_co_u32 v14, vcc_lo, v26, s18
	v_add_co_ci_u32_e64 v15, null, s20, v27, vcc_lo
	s_mov_b32 s18, exec_lo
	global_store_dwordx2 v[14:15], v[18:19], off
	s_waitcnt_vscnt null, 0x0
	global_atomic_cmpswap_x2 v[8:9], v11, v[16:19], s[6:7] offset:32 glc
	s_waitcnt vmcnt(0)
	v_cmpx_ne_u64_e64 v[8:9], v[18:19]
	s_cbranch_execz .LBB1_206
; %bb.204:                              ;   in Loop: Header=BB1_145 Depth=1
	s_mov_b32 s19, 0
.LBB1_205:                              ;   Parent Loop BB1_145 Depth=1
                                        ; =>  This Inner Loop Header: Depth=2
	v_mov_b32_e32 v6, s16
	v_mov_b32_e32 v7, s17
	s_sleep 1
	global_store_dwordx2 v[14:15], v[8:9], off
	s_waitcnt_vscnt null, 0x0
	global_atomic_cmpswap_x2 v[6:7], v11, v[6:9], s[6:7] offset:32 glc
	s_waitcnt vmcnt(0)
	v_cmp_eq_u64_e32 vcc_lo, v[6:7], v[8:9]
	v_mov_b32_e32 v9, v7
	v_mov_b32_e32 v8, v6
	s_or_b32 s19, vcc_lo, s19
	s_andn2_b32 exec_lo, exec_lo, s19
	s_cbranch_execnz .LBB1_205
.LBB1_206:                              ;   in Loop: Header=BB1_145 Depth=1
	s_or_b32 exec_lo, exec_lo, s18
	global_load_dwordx2 v[6:7], v11, s[6:7] offset:16
	s_mov_b32 s19, exec_lo
	s_mov_b32 s18, exec_lo
	v_mbcnt_lo_u32_b32 v8, s19, 0
	v_cmpx_eq_u32_e32 0, v8
	s_cbranch_execz .LBB1_208
; %bb.207:                              ;   in Loop: Header=BB1_145 Depth=1
	s_bcnt1_i32_b32 s19, s19
	v_mov_b32_e32 v10, s19
	s_waitcnt vmcnt(0)
	global_atomic_add_x2 v[6:7], v[10:11], off offset:8
.LBB1_208:                              ;   in Loop: Header=BB1_145 Depth=1
	s_or_b32 exec_lo, exec_lo, s18
	s_waitcnt vmcnt(0)
	global_load_dwordx2 v[8:9], v[6:7], off offset:16
	s_waitcnt vmcnt(0)
	v_cmp_eq_u64_e32 vcc_lo, 0, v[8:9]
	s_cbranch_vccnz .LBB1_210
; %bb.209:                              ;   in Loop: Header=BB1_145 Depth=1
	global_load_dword v10, v[6:7], off offset:24
	s_waitcnt vmcnt(0)
	v_readfirstlane_b32 s18, v10
	s_waitcnt_vscnt null, 0x0
	global_store_dwordx2 v[8:9], v[10:11], off
	s_and_b32 m0, s18, 0x7fffff
	s_sendmsg sendmsg(MSG_INTERRUPT)
.LBB1_210:                              ;   in Loop: Header=BB1_145 Depth=1
	s_or_b32 exec_lo, exec_lo, s5
	v_add_co_u32 v6, vcc_lo, v28, v33
	v_add_co_ci_u32_e64 v7, null, 0, v29, vcc_lo
	s_branch .LBB1_214
	.p2align	6
.LBB1_211:                              ;   in Loop: Header=BB1_214 Depth=2
	s_or_b32 exec_lo, exec_lo, s5
	v_readfirstlane_b32 s5, v8
	s_cmp_eq_u32 s5, 0
	s_cbranch_scc1 .LBB1_213
; %bb.212:                              ;   in Loop: Header=BB1_214 Depth=2
	s_sleep 1
	s_cbranch_execnz .LBB1_214
	s_branch .LBB1_216
	.p2align	6
.LBB1_213:                              ;   in Loop: Header=BB1_145 Depth=1
	s_branch .LBB1_216
.LBB1_214:                              ;   Parent Loop BB1_145 Depth=1
                                        ; =>  This Inner Loop Header: Depth=2
	v_mov_b32_e32 v8, 1
	s_and_saveexec_b32 s5, s4
	s_cbranch_execz .LBB1_211
; %bb.215:                              ;   in Loop: Header=BB1_214 Depth=2
	global_load_dword v8, v[2:3], off offset:20 glc dlc
	s_waitcnt vmcnt(0)
	buffer_gl1_inv
	buffer_gl0_inv
	v_and_b32_e32 v8, 1, v8
	s_branch .LBB1_211
.LBB1_216:                              ;   in Loop: Header=BB1_145 Depth=1
	global_load_dwordx2 v[6:7], v[6:7], off
	s_and_saveexec_b32 s18, s4
	s_cbranch_execz .LBB1_144
; %bb.217:                              ;   in Loop: Header=BB1_145 Depth=1
	s_clause 0x2
	global_load_dwordx2 v[2:3], v11, s[6:7] offset:40
	global_load_dwordx2 v[18:19], v11, s[6:7] offset:24 glc dlc
	global_load_dwordx2 v[8:9], v11, s[6:7]
	s_waitcnt vmcnt(2)
	v_readfirstlane_b32 s20, v2
	v_readfirstlane_b32 s21, v3
	s_add_u32 s19, s20, 1
	s_addc_u32 s22, s21, 0
	s_add_u32 s4, s19, s16
	s_addc_u32 s5, s22, s17
	s_cmp_eq_u64 s[4:5], 0
	s_cselect_b32 s5, s22, s5
	s_cselect_b32 s4, s19, s4
	v_mov_b32_e32 v17, s5
	s_and_b64 s[16:17], s[4:5], s[20:21]
	v_mov_b32_e32 v16, s4
	s_mul_i32 s17, s17, 24
	s_mul_hi_u32 s19, s16, 24
	s_mul_i32 s16, s16, 24
	s_add_i32 s19, s19, s17
	s_waitcnt vmcnt(0)
	v_add_co_u32 v2, vcc_lo, v8, s16
	v_add_co_ci_u32_e64 v3, null, s19, v9, vcc_lo
	global_store_dwordx2 v[2:3], v[18:19], off
	s_waitcnt_vscnt null, 0x0
	global_atomic_cmpswap_x2 v[16:17], v11, v[16:19], s[6:7] offset:24 glc
	s_waitcnt vmcnt(0)
	v_cmp_ne_u64_e32 vcc_lo, v[16:17], v[18:19]
	s_and_b32 exec_lo, exec_lo, vcc_lo
	s_cbranch_execz .LBB1_144
; %bb.218:                              ;   in Loop: Header=BB1_145 Depth=1
	s_mov_b32 s16, 0
.LBB1_219:                              ;   Parent Loop BB1_145 Depth=1
                                        ; =>  This Inner Loop Header: Depth=2
	v_mov_b32_e32 v14, s4
	v_mov_b32_e32 v15, s5
	s_sleep 1
	global_store_dwordx2 v[2:3], v[16:17], off
	s_waitcnt_vscnt null, 0x0
	global_atomic_cmpswap_x2 v[8:9], v11, v[14:17], s[6:7] offset:24 glc
	s_waitcnt vmcnt(0)
	v_cmp_eq_u64_e32 vcc_lo, v[8:9], v[16:17]
	v_mov_b32_e32 v17, v9
	v_mov_b32_e32 v16, v8
	s_or_b32 s16, vcc_lo, s16
	s_andn2_b32 exec_lo, exec_lo, s16
	s_cbranch_execnz .LBB1_219
	s_branch .LBB1_144
.LBB1_220:
                                        ; implicit-def: $vgpr6_vgpr7
	s_cbranch_execnz .LBB1_222
	s_branch .LBB1_249
.LBB1_221:
	s_branch .LBB1_249
.LBB1_222:
	v_readfirstlane_b32 s4, v32
	v_mov_b32_e32 v10, 0
	v_mov_b32_e32 v11, 0
	v_cmp_eq_u32_e64 s4, s4, v32
	s_and_saveexec_b32 s5, s4
	s_cbranch_execz .LBB1_228
; %bb.223:
	v_mov_b32_e32 v2, 0
	s_mov_b32 s10, exec_lo
	global_load_dwordx2 v[8:9], v2, s[6:7] offset:24 glc dlc
	s_waitcnt vmcnt(0)
	buffer_gl1_inv
	buffer_gl0_inv
	s_clause 0x1
	global_load_dwordx2 v[6:7], v2, s[6:7] offset:40
	global_load_dwordx2 v[10:11], v2, s[6:7]
	s_waitcnt vmcnt(1)
	v_and_b32_e32 v3, v7, v9
	v_and_b32_e32 v6, v6, v8
	v_mul_lo_u32 v3, v3, 24
	v_mul_hi_u32 v7, v6, 24
	v_mul_lo_u32 v6, v6, 24
	v_add_nc_u32_e32 v3, v7, v3
	s_waitcnt vmcnt(0)
	v_add_co_u32 v6, vcc_lo, v10, v6
	v_add_co_ci_u32_e64 v7, null, v11, v3, vcc_lo
	global_load_dwordx2 v[6:7], v[6:7], off glc dlc
	s_waitcnt vmcnt(0)
	global_atomic_cmpswap_x2 v[10:11], v2, v[6:9], s[6:7] offset:24 glc
	s_waitcnt vmcnt(0)
	buffer_gl1_inv
	buffer_gl0_inv
	v_cmpx_ne_u64_e64 v[10:11], v[8:9]
	s_cbranch_execz .LBB1_227
; %bb.224:
	s_mov_b32 s11, 0
	.p2align	6
.LBB1_225:                              ; =>This Inner Loop Header: Depth=1
	s_sleep 1
	s_clause 0x1
	global_load_dwordx2 v[6:7], v2, s[6:7] offset:40
	global_load_dwordx2 v[12:13], v2, s[6:7]
	v_mov_b32_e32 v8, v10
	v_mov_b32_e32 v9, v11
	s_waitcnt vmcnt(1)
	v_and_b32_e32 v3, v6, v8
	v_and_b32_e32 v6, v7, v9
	s_waitcnt vmcnt(0)
	v_mad_u64_u32 v[10:11], null, v3, 24, v[12:13]
	v_mov_b32_e32 v3, v11
	v_mad_u64_u32 v[6:7], null, v6, 24, v[3:4]
	v_mov_b32_e32 v11, v6
	global_load_dwordx2 v[6:7], v[10:11], off glc dlc
	s_waitcnt vmcnt(0)
	global_atomic_cmpswap_x2 v[10:11], v2, v[6:9], s[6:7] offset:24 glc
	s_waitcnt vmcnt(0)
	buffer_gl1_inv
	buffer_gl0_inv
	v_cmp_eq_u64_e32 vcc_lo, v[10:11], v[8:9]
	s_or_b32 s11, vcc_lo, s11
	s_andn2_b32 exec_lo, exec_lo, s11
	s_cbranch_execnz .LBB1_225
; %bb.226:
	s_or_b32 exec_lo, exec_lo, s11
.LBB1_227:
	s_or_b32 exec_lo, exec_lo, s10
.LBB1_228:
	s_or_b32 exec_lo, exec_lo, s5
	v_mov_b32_e32 v2, 0
	v_readfirstlane_b32 s11, v11
	v_readfirstlane_b32 s10, v10
	s_mov_b32 s5, exec_lo
	s_clause 0x1
	global_load_dwordx2 v[12:13], v2, s[6:7] offset:40
	global_load_dwordx4 v[6:9], v2, s[6:7]
	s_waitcnt vmcnt(1)
	v_readfirstlane_b32 s12, v12
	v_readfirstlane_b32 s13, v13
	s_and_b64 s[12:13], s[12:13], s[10:11]
	s_mul_i32 s14, s13, 24
	s_mul_hi_u32 s15, s12, 24
	s_mul_i32 s16, s12, 24
	s_add_i32 s15, s15, s14
	s_waitcnt vmcnt(0)
	v_add_co_u32 v10, vcc_lo, v6, s16
	v_add_co_ci_u32_e64 v11, null, s15, v7, vcc_lo
	s_and_saveexec_b32 s14, s4
	s_cbranch_execz .LBB1_230
; %bb.229:
	v_mov_b32_e32 v12, s5
	v_mov_b32_e32 v13, v2
	;; [unrolled: 1-line block ×4, first 2 shown]
	global_store_dwordx4 v[10:11], v[12:15], off offset:8
.LBB1_230:
	s_or_b32 exec_lo, exec_lo, s14
	s_lshl_b64 s[12:13], s[12:13], 12
	v_and_or_b32 v0, 0xffffff1f, v0, 32
	v_add_co_u32 v8, vcc_lo, v8, s12
	v_add_co_ci_u32_e64 v9, null, s13, v9, vcc_lo
	s_mov_b32 s12, 0
	v_readfirstlane_b32 s16, v8
	v_add_co_u32 v8, vcc_lo, v8, v33
	s_mov_b32 s13, s12
	s_mov_b32 s14, s12
	;; [unrolled: 1-line block ×3, first 2 shown]
	v_mov_b32_e32 v3, v2
	v_readfirstlane_b32 s17, v9
	v_mov_b32_e32 v12, s12
	v_add_co_ci_u32_e64 v9, null, 0, v9, vcc_lo
	v_mov_b32_e32 v13, s13
	v_mov_b32_e32 v14, s14
	;; [unrolled: 1-line block ×3, first 2 shown]
	global_store_dwordx4 v33, v[0:3], s[16:17]
	global_store_dwordx4 v33, v[12:15], s[16:17] offset:16
	global_store_dwordx4 v33, v[12:15], s[16:17] offset:32
	;; [unrolled: 1-line block ×3, first 2 shown]
	s_and_saveexec_b32 s5, s4
	s_cbranch_execz .LBB1_238
; %bb.231:
	v_mov_b32_e32 v12, 0
	v_mov_b32_e32 v13, s10
	;; [unrolled: 1-line block ×3, first 2 shown]
	s_clause 0x1
	global_load_dwordx2 v[15:16], v12, s[6:7] offset:32 glc dlc
	global_load_dwordx2 v[0:1], v12, s[6:7] offset:40
	s_waitcnt vmcnt(0)
	v_readfirstlane_b32 s12, v0
	v_readfirstlane_b32 s13, v1
	s_and_b64 s[12:13], s[12:13], s[10:11]
	s_mul_i32 s13, s13, 24
	s_mul_hi_u32 s14, s12, 24
	s_mul_i32 s12, s12, 24
	s_add_i32 s14, s14, s13
	v_add_co_u32 v6, vcc_lo, v6, s12
	v_add_co_ci_u32_e64 v7, null, s14, v7, vcc_lo
	s_mov_b32 s12, exec_lo
	global_store_dwordx2 v[6:7], v[15:16], off
	s_waitcnt_vscnt null, 0x0
	global_atomic_cmpswap_x2 v[2:3], v12, v[13:16], s[6:7] offset:32 glc
	s_waitcnt vmcnt(0)
	v_cmpx_ne_u64_e64 v[2:3], v[15:16]
	s_cbranch_execz .LBB1_234
; %bb.232:
	s_mov_b32 s13, 0
.LBB1_233:                              ; =>This Inner Loop Header: Depth=1
	v_mov_b32_e32 v0, s10
	v_mov_b32_e32 v1, s11
	s_sleep 1
	global_store_dwordx2 v[6:7], v[2:3], off
	s_waitcnt_vscnt null, 0x0
	global_atomic_cmpswap_x2 v[0:1], v12, v[0:3], s[6:7] offset:32 glc
	s_waitcnt vmcnt(0)
	v_cmp_eq_u64_e32 vcc_lo, v[0:1], v[2:3]
	v_mov_b32_e32 v3, v1
	v_mov_b32_e32 v2, v0
	s_or_b32 s13, vcc_lo, s13
	s_andn2_b32 exec_lo, exec_lo, s13
	s_cbranch_execnz .LBB1_233
.LBB1_234:
	s_or_b32 exec_lo, exec_lo, s12
	v_mov_b32_e32 v3, 0
	s_mov_b32 s13, exec_lo
	s_mov_b32 s12, exec_lo
	v_mbcnt_lo_u32_b32 v2, s13, 0
	global_load_dwordx2 v[0:1], v3, s[6:7] offset:16
	v_cmpx_eq_u32_e32 0, v2
	s_cbranch_execz .LBB1_236
; %bb.235:
	s_bcnt1_i32_b32 s13, s13
	v_mov_b32_e32 v2, s13
	s_waitcnt vmcnt(0)
	global_atomic_add_x2 v[0:1], v[2:3], off offset:8
.LBB1_236:
	s_or_b32 exec_lo, exec_lo, s12
	s_waitcnt vmcnt(0)
	global_load_dwordx2 v[2:3], v[0:1], off offset:16
	s_waitcnt vmcnt(0)
	v_cmp_eq_u64_e32 vcc_lo, 0, v[2:3]
	s_cbranch_vccnz .LBB1_238
; %bb.237:
	global_load_dword v0, v[0:1], off offset:24
	v_mov_b32_e32 v1, 0
	s_waitcnt vmcnt(0)
	v_readfirstlane_b32 s12, v0
	s_waitcnt_vscnt null, 0x0
	global_store_dwordx2 v[2:3], v[0:1], off
	s_and_b32 m0, s12, 0x7fffff
	s_sendmsg sendmsg(MSG_INTERRUPT)
.LBB1_238:
	s_or_b32 exec_lo, exec_lo, s5
	s_branch .LBB1_242
	.p2align	6
.LBB1_239:                              ;   in Loop: Header=BB1_242 Depth=1
	s_or_b32 exec_lo, exec_lo, s5
	v_readfirstlane_b32 s5, v0
	s_cmp_eq_u32 s5, 0
	s_cbranch_scc1 .LBB1_241
; %bb.240:                              ;   in Loop: Header=BB1_242 Depth=1
	s_sleep 1
	s_cbranch_execnz .LBB1_242
	s_branch .LBB1_244
	.p2align	6
.LBB1_241:
	s_branch .LBB1_244
.LBB1_242:                              ; =>This Inner Loop Header: Depth=1
	v_mov_b32_e32 v0, 1
	s_and_saveexec_b32 s5, s4
	s_cbranch_execz .LBB1_239
; %bb.243:                              ;   in Loop: Header=BB1_242 Depth=1
	global_load_dword v0, v[10:11], off offset:20 glc dlc
	s_waitcnt vmcnt(0)
	buffer_gl1_inv
	buffer_gl0_inv
	v_and_b32_e32 v0, 1, v0
	s_branch .LBB1_239
.LBB1_244:
	global_load_dwordx2 v[6:7], v[8:9], off
	s_and_saveexec_b32 s12, s4
	s_cbranch_execz .LBB1_248
; %bb.245:
	v_mov_b32_e32 v10, 0
	s_clause 0x2
	global_load_dwordx2 v[0:1], v10, s[6:7] offset:40
	global_load_dwordx2 v[13:14], v10, s[6:7] offset:24 glc dlc
	global_load_dwordx2 v[2:3], v10, s[6:7]
	s_waitcnt vmcnt(2)
	v_readfirstlane_b32 s14, v0
	v_readfirstlane_b32 s15, v1
	s_add_u32 s13, s14, 1
	s_addc_u32 s16, s15, 0
	s_add_u32 s4, s13, s10
	s_addc_u32 s5, s16, s11
	s_cmp_eq_u64 s[4:5], 0
	s_cselect_b32 s5, s16, s5
	s_cselect_b32 s4, s13, s4
	v_mov_b32_e32 v12, s5
	s_and_b64 s[10:11], s[4:5], s[14:15]
	v_mov_b32_e32 v11, s4
	s_mul_i32 s11, s11, 24
	s_mul_hi_u32 s13, s10, 24
	s_mul_i32 s10, s10, 24
	s_add_i32 s13, s13, s11
	s_waitcnt vmcnt(0)
	v_add_co_u32 v8, vcc_lo, v2, s10
	v_add_co_ci_u32_e64 v9, null, s13, v3, vcc_lo
	global_store_dwordx2 v[8:9], v[13:14], off
	s_waitcnt_vscnt null, 0x0
	global_atomic_cmpswap_x2 v[2:3], v10, v[11:14], s[6:7] offset:24 glc
	s_waitcnt vmcnt(0)
	v_cmp_ne_u64_e32 vcc_lo, v[2:3], v[13:14]
	s_and_b32 exec_lo, exec_lo, vcc_lo
	s_cbranch_execz .LBB1_248
; %bb.246:
	s_mov_b32 s10, 0
.LBB1_247:                              ; =>This Inner Loop Header: Depth=1
	v_mov_b32_e32 v0, s4
	v_mov_b32_e32 v1, s5
	s_sleep 1
	global_store_dwordx2 v[8:9], v[2:3], off
	s_waitcnt_vscnt null, 0x0
	global_atomic_cmpswap_x2 v[0:1], v10, v[0:3], s[6:7] offset:24 glc
	s_waitcnt vmcnt(0)
	v_cmp_eq_u64_e32 vcc_lo, v[0:1], v[2:3]
	v_mov_b32_e32 v3, v1
	v_mov_b32_e32 v2, v0
	s_or_b32 s10, vcc_lo, s10
	s_andn2_b32 exec_lo, exec_lo, s10
	s_cbranch_execnz .LBB1_247
.LBB1_248:
	s_or_b32 exec_lo, exec_lo, s12
.LBB1_249:
	v_readfirstlane_b32 s4, v32
	v_mov_b32_e32 v10, 0
	v_mov_b32_e32 v11, 0
	v_cmp_eq_u32_e64 s4, s4, v32
	s_and_saveexec_b32 s5, s4
	s_cbranch_execz .LBB1_255
; %bb.250:
	s_waitcnt vmcnt(0)
	v_mov_b32_e32 v0, 0
	s_mov_b32 s10, exec_lo
	global_load_dwordx2 v[12:13], v0, s[6:7] offset:24 glc dlc
	s_waitcnt vmcnt(0)
	buffer_gl1_inv
	buffer_gl0_inv
	s_clause 0x1
	global_load_dwordx2 v[1:2], v0, s[6:7] offset:40
	global_load_dwordx2 v[8:9], v0, s[6:7]
	s_waitcnt vmcnt(1)
	v_and_b32_e32 v2, v2, v13
	v_and_b32_e32 v1, v1, v12
	v_mul_lo_u32 v2, v2, 24
	v_mul_hi_u32 v3, v1, 24
	v_mul_lo_u32 v1, v1, 24
	v_add_nc_u32_e32 v2, v3, v2
	s_waitcnt vmcnt(0)
	v_add_co_u32 v1, vcc_lo, v8, v1
	v_add_co_ci_u32_e64 v2, null, v9, v2, vcc_lo
	global_load_dwordx2 v[10:11], v[1:2], off glc dlc
	s_waitcnt vmcnt(0)
	global_atomic_cmpswap_x2 v[10:11], v0, v[10:13], s[6:7] offset:24 glc
	s_waitcnt vmcnt(0)
	buffer_gl1_inv
	buffer_gl0_inv
	v_cmpx_ne_u64_e64 v[10:11], v[12:13]
	s_cbranch_execz .LBB1_254
; %bb.251:
	s_mov_b32 s11, 0
	.p2align	6
.LBB1_252:                              ; =>This Inner Loop Header: Depth=1
	s_sleep 1
	s_clause 0x1
	global_load_dwordx2 v[1:2], v0, s[6:7] offset:40
	global_load_dwordx2 v[8:9], v0, s[6:7]
	v_mov_b32_e32 v13, v11
	v_mov_b32_e32 v12, v10
	s_waitcnt vmcnt(1)
	v_and_b32_e32 v1, v1, v12
	v_and_b32_e32 v2, v2, v13
	s_waitcnt vmcnt(0)
	v_mad_u64_u32 v[8:9], null, v1, 24, v[8:9]
	v_mov_b32_e32 v1, v9
	v_mad_u64_u32 v[1:2], null, v2, 24, v[1:2]
	v_mov_b32_e32 v9, v1
	global_load_dwordx2 v[10:11], v[8:9], off glc dlc
	s_waitcnt vmcnt(0)
	global_atomic_cmpswap_x2 v[10:11], v0, v[10:13], s[6:7] offset:24 glc
	s_waitcnt vmcnt(0)
	buffer_gl1_inv
	buffer_gl0_inv
	v_cmp_eq_u64_e32 vcc_lo, v[10:11], v[12:13]
	s_or_b32 s11, vcc_lo, s11
	s_andn2_b32 exec_lo, exec_lo, s11
	s_cbranch_execnz .LBB1_252
; %bb.253:
	s_or_b32 exec_lo, exec_lo, s11
.LBB1_254:
	s_or_b32 exec_lo, exec_lo, s10
.LBB1_255:
	s_or_b32 exec_lo, exec_lo, s5
	v_mov_b32_e32 v9, 0
	v_readfirstlane_b32 s11, v11
	v_readfirstlane_b32 s10, v10
	s_mov_b32 s5, exec_lo
	s_clause 0x1
	global_load_dwordx2 v[12:13], v9, s[6:7] offset:40
	global_load_dwordx4 v[0:3], v9, s[6:7]
	s_waitcnt vmcnt(1)
	v_readfirstlane_b32 s12, v12
	v_readfirstlane_b32 s13, v13
	s_and_b64 s[12:13], s[12:13], s[10:11]
	s_mul_i32 s14, s13, 24
	s_mul_hi_u32 s15, s12, 24
	s_mul_i32 s16, s12, 24
	s_add_i32 s15, s15, s14
	s_waitcnt vmcnt(0)
	v_add_co_u32 v10, vcc_lo, v0, s16
	v_add_co_ci_u32_e64 v11, null, s15, v1, vcc_lo
	s_and_saveexec_b32 s14, s4
	s_cbranch_execz .LBB1_257
; %bb.256:
	v_mov_b32_e32 v8, s5
	v_mov_b32_e32 v13, v9
	;; [unrolled: 1-line block ×5, first 2 shown]
	global_store_dwordx4 v[10:11], v[12:15], off offset:8
.LBB1_257:
	s_or_b32 exec_lo, exec_lo, s14
	s_lshl_b64 s[12:13], s[12:13], 12
	v_and_or_b32 v6, 0xffffff1f, v6, 32
	v_add_co_u32 v2, vcc_lo, v2, s12
	v_add_co_ci_u32_e64 v3, null, s13, v3, vcc_lo
	s_mov_b32 s12, 0
	v_add_co_u32 v12, vcc_lo, v2, v33
	s_mov_b32 s15, s12
	s_mov_b32 s13, s12
	;; [unrolled: 1-line block ×3, first 2 shown]
	v_mov_b32_e32 v8, 0x331
	v_readfirstlane_b32 s16, v2
	v_readfirstlane_b32 s17, v3
	v_mov_b32_e32 v17, s15
	v_add_co_ci_u32_e64 v13, null, 0, v3, vcc_lo
	v_mov_b32_e32 v16, s14
	v_mov_b32_e32 v15, s13
	;; [unrolled: 1-line block ×3, first 2 shown]
	global_store_dwordx4 v33, v[6:9], s[16:17]
	global_store_dwordx4 v33, v[14:17], s[16:17] offset:16
	global_store_dwordx4 v33, v[14:17], s[16:17] offset:32
	;; [unrolled: 1-line block ×3, first 2 shown]
	s_and_saveexec_b32 s5, s4
	s_cbranch_execz .LBB1_265
; %bb.258:
	v_mov_b32_e32 v8, 0
	v_mov_b32_e32 v14, s10
	;; [unrolled: 1-line block ×3, first 2 shown]
	s_clause 0x1
	global_load_dwordx2 v[16:17], v8, s[6:7] offset:32 glc dlc
	global_load_dwordx2 v[2:3], v8, s[6:7] offset:40
	s_waitcnt vmcnt(0)
	v_readfirstlane_b32 s12, v2
	v_readfirstlane_b32 s13, v3
	s_and_b64 s[12:13], s[12:13], s[10:11]
	s_mul_i32 s13, s13, 24
	s_mul_hi_u32 s14, s12, 24
	s_mul_i32 s12, s12, 24
	s_add_i32 s14, s14, s13
	v_add_co_u32 v6, vcc_lo, v0, s12
	v_add_co_ci_u32_e64 v7, null, s14, v1, vcc_lo
	s_mov_b32 s12, exec_lo
	global_store_dwordx2 v[6:7], v[16:17], off
	s_waitcnt_vscnt null, 0x0
	global_atomic_cmpswap_x2 v[2:3], v8, v[14:17], s[6:7] offset:32 glc
	s_waitcnt vmcnt(0)
	v_cmpx_ne_u64_e64 v[2:3], v[16:17]
	s_cbranch_execz .LBB1_261
; %bb.259:
	s_mov_b32 s13, 0
.LBB1_260:                              ; =>This Inner Loop Header: Depth=1
	v_mov_b32_e32 v0, s10
	v_mov_b32_e32 v1, s11
	s_sleep 1
	global_store_dwordx2 v[6:7], v[2:3], off
	s_waitcnt_vscnt null, 0x0
	global_atomic_cmpswap_x2 v[0:1], v8, v[0:3], s[6:7] offset:32 glc
	s_waitcnt vmcnt(0)
	v_cmp_eq_u64_e32 vcc_lo, v[0:1], v[2:3]
	v_mov_b32_e32 v3, v1
	v_mov_b32_e32 v2, v0
	s_or_b32 s13, vcc_lo, s13
	s_andn2_b32 exec_lo, exec_lo, s13
	s_cbranch_execnz .LBB1_260
.LBB1_261:
	s_or_b32 exec_lo, exec_lo, s12
	v_mov_b32_e32 v3, 0
	s_mov_b32 s13, exec_lo
	s_mov_b32 s12, exec_lo
	v_mbcnt_lo_u32_b32 v2, s13, 0
	global_load_dwordx2 v[0:1], v3, s[6:7] offset:16
	v_cmpx_eq_u32_e32 0, v2
	s_cbranch_execz .LBB1_263
; %bb.262:
	s_bcnt1_i32_b32 s13, s13
	v_mov_b32_e32 v2, s13
	s_waitcnt vmcnt(0)
	global_atomic_add_x2 v[0:1], v[2:3], off offset:8
.LBB1_263:
	s_or_b32 exec_lo, exec_lo, s12
	s_waitcnt vmcnt(0)
	global_load_dwordx2 v[2:3], v[0:1], off offset:16
	s_waitcnt vmcnt(0)
	v_cmp_eq_u64_e32 vcc_lo, 0, v[2:3]
	s_cbranch_vccnz .LBB1_265
; %bb.264:
	global_load_dword v0, v[0:1], off offset:24
	v_mov_b32_e32 v1, 0
	s_waitcnt vmcnt(0)
	v_readfirstlane_b32 s12, v0
	s_waitcnt_vscnt null, 0x0
	global_store_dwordx2 v[2:3], v[0:1], off
	s_and_b32 m0, s12, 0x7fffff
	s_sendmsg sendmsg(MSG_INTERRUPT)
.LBB1_265:
	s_or_b32 exec_lo, exec_lo, s5
	s_branch .LBB1_269
	.p2align	6
.LBB1_266:                              ;   in Loop: Header=BB1_269 Depth=1
	s_or_b32 exec_lo, exec_lo, s5
	v_readfirstlane_b32 s5, v0
	s_cmp_eq_u32 s5, 0
	s_cbranch_scc1 .LBB1_268
; %bb.267:                              ;   in Loop: Header=BB1_269 Depth=1
	s_sleep 1
	s_cbranch_execnz .LBB1_269
	s_branch .LBB1_271
	.p2align	6
.LBB1_268:
	s_branch .LBB1_271
.LBB1_269:                              ; =>This Inner Loop Header: Depth=1
	v_mov_b32_e32 v0, 1
	s_and_saveexec_b32 s5, s4
	s_cbranch_execz .LBB1_266
; %bb.270:                              ;   in Loop: Header=BB1_269 Depth=1
	global_load_dword v0, v[10:11], off offset:20 glc dlc
	s_waitcnt vmcnt(0)
	buffer_gl1_inv
	buffer_gl0_inv
	v_and_b32_e32 v0, 1, v0
	s_branch .LBB1_266
.LBB1_271:
	global_load_dwordx2 v[0:1], v[12:13], off
	s_and_saveexec_b32 s12, s4
	s_cbranch_execz .LBB1_275
; %bb.272:
	v_mov_b32_e32 v10, 0
	s_clause 0x2
	global_load_dwordx2 v[2:3], v10, s[6:7] offset:40
	global_load_dwordx2 v[13:14], v10, s[6:7] offset:24 glc dlc
	global_load_dwordx2 v[6:7], v10, s[6:7]
	s_waitcnt vmcnt(2)
	v_readfirstlane_b32 s14, v2
	v_readfirstlane_b32 s15, v3
	s_add_u32 s13, s14, 1
	s_addc_u32 s16, s15, 0
	s_add_u32 s4, s13, s10
	s_addc_u32 s5, s16, s11
	s_cmp_eq_u64 s[4:5], 0
	s_cselect_b32 s5, s16, s5
	s_cselect_b32 s4, s13, s4
	v_mov_b32_e32 v12, s5
	s_and_b64 s[10:11], s[4:5], s[14:15]
	v_mov_b32_e32 v11, s4
	s_mul_i32 s11, s11, 24
	s_mul_hi_u32 s13, s10, 24
	s_mul_i32 s10, s10, 24
	s_add_i32 s13, s13, s11
	s_waitcnt vmcnt(0)
	v_add_co_u32 v2, vcc_lo, v6, s10
	v_add_co_ci_u32_e64 v3, null, s13, v7, vcc_lo
	global_store_dwordx2 v[2:3], v[13:14], off
	s_waitcnt_vscnt null, 0x0
	global_atomic_cmpswap_x2 v[8:9], v10, v[11:14], s[6:7] offset:24 glc
	s_waitcnt vmcnt(0)
	v_cmp_ne_u64_e32 vcc_lo, v[8:9], v[13:14]
	s_and_b32 exec_lo, exec_lo, vcc_lo
	s_cbranch_execz .LBB1_275
; %bb.273:
	s_mov_b32 s10, 0
.LBB1_274:                              ; =>This Inner Loop Header: Depth=1
	v_mov_b32_e32 v6, s4
	v_mov_b32_e32 v7, s5
	s_sleep 1
	global_store_dwordx2 v[2:3], v[8:9], off
	s_waitcnt_vscnt null, 0x0
	global_atomic_cmpswap_x2 v[6:7], v10, v[6:9], s[6:7] offset:24 glc
	s_waitcnt vmcnt(0)
	v_cmp_eq_u64_e32 vcc_lo, v[6:7], v[8:9]
	v_mov_b32_e32 v9, v7
	v_mov_b32_e32 v8, v6
	s_or_b32 s10, vcc_lo, s10
	s_andn2_b32 exec_lo, exec_lo, s10
	s_cbranch_execnz .LBB1_274
.LBB1_275:
	s_or_b32 exec_lo, exec_lo, s12
	v_mov_b32_e32 v7, v5
	v_mov_b32_e32 v6, v4
	s_mov_b32 s4, 0
.LBB1_276:                              ; =>This Inner Loop Header: Depth=1
	global_load_ubyte v8, v[6:7], off
	v_add_co_u32 v2, vcc_lo, v6, 1
	v_add_co_ci_u32_e64 v3, null, 0, v7, vcc_lo
	v_mov_b32_e32 v7, v3
	v_mov_b32_e32 v6, v2
	s_waitcnt vmcnt(0)
	v_cmp_eq_u16_e32 vcc_lo, 0, v8
	s_or_b32 s4, vcc_lo, s4
	s_andn2_b32 exec_lo, exec_lo, s4
	s_cbranch_execnz .LBB1_276
; %bb.277:
	s_or_b32 exec_lo, exec_lo, s4
	s_mov_b32 s4, exec_lo
	v_cmpx_ne_u64_e32 0, v[4:5]
	s_xor_b32 s14, exec_lo, s4
	s_cbranch_execz .LBB1_363
; %bb.278:
	v_sub_nc_u32_e32 v26, v2, v4
	v_and_b32_e32 v34, 2, v0
	v_mov_b32_e32 v7, 0
	v_and_b32_e32 v0, -3, v0
	v_mov_b32_e32 v8, 2
	v_ashrrev_i32_e32 v27, 31, v26
	v_mov_b32_e32 v9, 1
	s_mov_b32 s16, 0
	s_mov_b32 s15, 0
	s_branch .LBB1_280
.LBB1_279:                              ;   in Loop: Header=BB1_280 Depth=1
	s_or_b32 exec_lo, exec_lo, s12
	v_sub_co_u32 v26, vcc_lo, v26, v28
	v_sub_co_ci_u32_e64 v27, null, v27, v29, vcc_lo
	v_add_co_u32 v4, s4, v4, v28
	v_add_co_ci_u32_e64 v5, null, v5, v29, s4
	v_cmp_eq_u64_e32 vcc_lo, 0, v[26:27]
	s_or_b32 s15, vcc_lo, s15
	s_andn2_b32 exec_lo, exec_lo, s15
	s_cbranch_execz .LBB1_362
.LBB1_280:                              ; =>This Loop Header: Depth=1
                                        ;     Child Loop BB1_283 Depth 2
                                        ;     Child Loop BB1_291 Depth 2
	;; [unrolled: 1-line block ×11, first 2 shown]
	v_cmp_gt_u64_e32 vcc_lo, 56, v[26:27]
	s_mov_b32 s5, exec_lo
	v_cndmask_b32_e32 v29, 0, v27, vcc_lo
	v_cndmask_b32_e32 v28, 56, v26, vcc_lo
	v_add_co_u32 v12, vcc_lo, v4, 8
	v_add_co_ci_u32_e64 v13, null, 0, v5, vcc_lo
	v_cmpx_gt_u64_e32 8, v[26:27]
	s_xor_b32 s5, exec_lo, s5
	s_cbranch_execz .LBB1_286
; %bb.281:                              ;   in Loop: Header=BB1_280 Depth=1
	v_mov_b32_e32 v2, 0
	v_mov_b32_e32 v3, 0
	s_mov_b32 s12, exec_lo
	v_cmpx_ne_u64_e32 0, v[26:27]
	s_cbranch_execz .LBB1_285
; %bb.282:                              ;   in Loop: Header=BB1_280 Depth=1
	v_lshlrev_b64 v[10:11], 3, v[28:29]
	v_mov_b32_e32 v2, 0
	v_mov_b32_e32 v12, v5
	;; [unrolled: 1-line block ×4, first 2 shown]
	s_mov_b64 s[10:11], 0
	s_mov_b32 s13, 0
	.p2align	6
.LBB1_283:                              ;   Parent Loop BB1_280 Depth=1
                                        ; =>  This Inner Loop Header: Depth=2
	global_load_ubyte v6, v[11:12], off
	v_mov_b32_e32 v14, s16
	v_add_co_u32 v11, vcc_lo, v11, 1
	v_add_co_ci_u32_e64 v12, null, 0, v12, vcc_lo
	s_waitcnt vmcnt(0)
	v_and_b32_e32 v13, 0xffff, v6
	v_lshlrev_b64 v[13:14], s10, v[13:14]
	s_add_u32 s10, s10, 8
	s_addc_u32 s11, s11, 0
	v_cmp_eq_u32_e64 s4, s10, v10
	v_or_b32_e32 v3, v14, v3
	v_or_b32_e32 v2, v13, v2
	s_or_b32 s13, s4, s13
	s_andn2_b32 exec_lo, exec_lo, s13
	s_cbranch_execnz .LBB1_283
; %bb.284:                              ;   in Loop: Header=BB1_280 Depth=1
	s_or_b32 exec_lo, exec_lo, s13
.LBB1_285:                              ;   in Loop: Header=BB1_280 Depth=1
	s_or_b32 exec_lo, exec_lo, s12
	v_mov_b32_e32 v13, v5
	v_mov_b32_e32 v12, v4
.LBB1_286:                              ;   in Loop: Header=BB1_280 Depth=1
	s_or_saveexec_b32 s4, s5
	v_mov_b32_e32 v6, 0
	s_xor_b32 exec_lo, exec_lo, s4
	s_cbranch_execz .LBB1_288
; %bb.287:                              ;   in Loop: Header=BB1_280 Depth=1
	global_load_dwordx2 v[2:3], v[4:5], off
	v_add_nc_u32_e32 v6, -8, v28
.LBB1_288:                              ;   in Loop: Header=BB1_280 Depth=1
	s_or_b32 exec_lo, exec_lo, s4
	v_add_co_u32 v14, s4, v12, 8
	v_add_co_ci_u32_e64 v15, null, 0, v13, s4
                                        ; implicit-def: $vgpr10_vgpr11
	s_mov_b32 s4, exec_lo
	v_cmpx_gt_u32_e32 8, v6
	s_xor_b32 s12, exec_lo, s4
	s_cbranch_execz .LBB1_294
; %bb.289:                              ;   in Loop: Header=BB1_280 Depth=1
	v_mov_b32_e32 v10, 0
	v_mov_b32_e32 v11, 0
	s_mov_b32 s13, exec_lo
	v_cmpx_ne_u32_e32 0, v6
	s_cbranch_execz .LBB1_293
; %bb.290:                              ;   in Loop: Header=BB1_280 Depth=1
	v_mov_b32_e32 v10, 0
	v_mov_b32_e32 v11, 0
	s_mov_b64 s[4:5], 0
	s_mov_b32 s17, 0
	s_mov_b64 s[10:11], 0
	.p2align	6
.LBB1_291:                              ;   Parent Loop BB1_280 Depth=1
                                        ; =>  This Inner Loop Header: Depth=2
	v_add_co_u32 v14, vcc_lo, v12, s10
	v_add_co_ci_u32_e64 v15, null, s11, v13, vcc_lo
	s_add_u32 s10, s10, 1
	s_addc_u32 s11, s11, 0
	v_cmp_eq_u32_e32 vcc_lo, s10, v6
	global_load_ubyte v14, v[14:15], off
	v_mov_b32_e32 v15, s16
	s_waitcnt vmcnt(0)
	v_and_b32_e32 v14, 0xffff, v14
	v_lshlrev_b64 v[14:15], s4, v[14:15]
	s_add_u32 s4, s4, 8
	s_addc_u32 s5, s5, 0
	s_or_b32 s17, vcc_lo, s17
	v_or_b32_e32 v11, v15, v11
	v_or_b32_e32 v10, v14, v10
	s_andn2_b32 exec_lo, exec_lo, s17
	s_cbranch_execnz .LBB1_291
; %bb.292:                              ;   in Loop: Header=BB1_280 Depth=1
	s_or_b32 exec_lo, exec_lo, s17
.LBB1_293:                              ;   in Loop: Header=BB1_280 Depth=1
	s_or_b32 exec_lo, exec_lo, s13
	v_mov_b32_e32 v15, v13
	v_mov_b32_e32 v14, v12
                                        ; implicit-def: $vgpr6
.LBB1_294:                              ;   in Loop: Header=BB1_280 Depth=1
	s_or_saveexec_b32 s4, s12
	v_mov_b32_e32 v18, 0
	s_xor_b32 exec_lo, exec_lo, s4
	s_cbranch_execz .LBB1_296
; %bb.295:                              ;   in Loop: Header=BB1_280 Depth=1
	global_load_dwordx2 v[10:11], v[12:13], off
	v_add_nc_u32_e32 v18, -8, v6
.LBB1_296:                              ;   in Loop: Header=BB1_280 Depth=1
	s_or_b32 exec_lo, exec_lo, s4
	v_add_co_u32 v16, s4, v14, 8
	v_add_co_ci_u32_e64 v17, null, 0, v15, s4
	s_mov_b32 s4, exec_lo
	v_cmpx_gt_u32_e32 8, v18
	s_xor_b32 s12, exec_lo, s4
	s_cbranch_execz .LBB1_302
; %bb.297:                              ;   in Loop: Header=BB1_280 Depth=1
	v_mov_b32_e32 v12, 0
	v_mov_b32_e32 v13, 0
	s_mov_b32 s13, exec_lo
	v_cmpx_ne_u32_e32 0, v18
	s_cbranch_execz .LBB1_301
; %bb.298:                              ;   in Loop: Header=BB1_280 Depth=1
	v_mov_b32_e32 v12, 0
	v_mov_b32_e32 v13, 0
	s_mov_b64 s[4:5], 0
	s_mov_b32 s17, 0
	s_mov_b64 s[10:11], 0
	.p2align	6
.LBB1_299:                              ;   Parent Loop BB1_280 Depth=1
                                        ; =>  This Inner Loop Header: Depth=2
	v_add_co_u32 v16, vcc_lo, v14, s10
	v_add_co_ci_u32_e64 v17, null, s11, v15, vcc_lo
	s_add_u32 s10, s10, 1
	s_addc_u32 s11, s11, 0
	v_cmp_eq_u32_e32 vcc_lo, s10, v18
	global_load_ubyte v6, v[16:17], off
	v_mov_b32_e32 v17, s16
	s_waitcnt vmcnt(0)
	v_and_b32_e32 v16, 0xffff, v6
	v_lshlrev_b64 v[16:17], s4, v[16:17]
	s_add_u32 s4, s4, 8
	s_addc_u32 s5, s5, 0
	s_or_b32 s17, vcc_lo, s17
	v_or_b32_e32 v13, v17, v13
	v_or_b32_e32 v12, v16, v12
	s_andn2_b32 exec_lo, exec_lo, s17
	s_cbranch_execnz .LBB1_299
; %bb.300:                              ;   in Loop: Header=BB1_280 Depth=1
	s_or_b32 exec_lo, exec_lo, s17
.LBB1_301:                              ;   in Loop: Header=BB1_280 Depth=1
	s_or_b32 exec_lo, exec_lo, s13
	v_mov_b32_e32 v17, v15
	v_mov_b32_e32 v16, v14
                                        ; implicit-def: $vgpr18
.LBB1_302:                              ;   in Loop: Header=BB1_280 Depth=1
	s_or_saveexec_b32 s4, s12
	v_mov_b32_e32 v6, 0
	s_xor_b32 exec_lo, exec_lo, s4
	s_cbranch_execz .LBB1_304
; %bb.303:                              ;   in Loop: Header=BB1_280 Depth=1
	global_load_dwordx2 v[12:13], v[14:15], off
	v_add_nc_u32_e32 v6, -8, v18
.LBB1_304:                              ;   in Loop: Header=BB1_280 Depth=1
	s_or_b32 exec_lo, exec_lo, s4
	v_add_co_u32 v18, s4, v16, 8
	v_add_co_ci_u32_e64 v19, null, 0, v17, s4
                                        ; implicit-def: $vgpr14_vgpr15
	s_mov_b32 s4, exec_lo
	v_cmpx_gt_u32_e32 8, v6
	s_xor_b32 s12, exec_lo, s4
	s_cbranch_execz .LBB1_310
; %bb.305:                              ;   in Loop: Header=BB1_280 Depth=1
	v_mov_b32_e32 v14, 0
	v_mov_b32_e32 v15, 0
	s_mov_b32 s13, exec_lo
	v_cmpx_ne_u32_e32 0, v6
	s_cbranch_execz .LBB1_309
; %bb.306:                              ;   in Loop: Header=BB1_280 Depth=1
	v_mov_b32_e32 v14, 0
	v_mov_b32_e32 v15, 0
	s_mov_b64 s[4:5], 0
	s_mov_b32 s17, 0
	s_mov_b64 s[10:11], 0
	.p2align	6
.LBB1_307:                              ;   Parent Loop BB1_280 Depth=1
                                        ; =>  This Inner Loop Header: Depth=2
	v_add_co_u32 v18, vcc_lo, v16, s10
	v_add_co_ci_u32_e64 v19, null, s11, v17, vcc_lo
	s_add_u32 s10, s10, 1
	s_addc_u32 s11, s11, 0
	v_cmp_eq_u32_e32 vcc_lo, s10, v6
	global_load_ubyte v18, v[18:19], off
	v_mov_b32_e32 v19, s16
	s_waitcnt vmcnt(0)
	v_and_b32_e32 v18, 0xffff, v18
	v_lshlrev_b64 v[18:19], s4, v[18:19]
	s_add_u32 s4, s4, 8
	s_addc_u32 s5, s5, 0
	s_or_b32 s17, vcc_lo, s17
	v_or_b32_e32 v15, v19, v15
	v_or_b32_e32 v14, v18, v14
	s_andn2_b32 exec_lo, exec_lo, s17
	s_cbranch_execnz .LBB1_307
; %bb.308:                              ;   in Loop: Header=BB1_280 Depth=1
	s_or_b32 exec_lo, exec_lo, s17
.LBB1_309:                              ;   in Loop: Header=BB1_280 Depth=1
	s_or_b32 exec_lo, exec_lo, s13
	v_mov_b32_e32 v19, v17
	v_mov_b32_e32 v18, v16
                                        ; implicit-def: $vgpr6
.LBB1_310:                              ;   in Loop: Header=BB1_280 Depth=1
	s_or_saveexec_b32 s4, s12
	v_mov_b32_e32 v22, 0
	s_xor_b32 exec_lo, exec_lo, s4
	s_cbranch_execz .LBB1_312
; %bb.311:                              ;   in Loop: Header=BB1_280 Depth=1
	global_load_dwordx2 v[14:15], v[16:17], off
	v_add_nc_u32_e32 v22, -8, v6
.LBB1_312:                              ;   in Loop: Header=BB1_280 Depth=1
	s_or_b32 exec_lo, exec_lo, s4
	v_add_co_u32 v20, s4, v18, 8
	v_add_co_ci_u32_e64 v21, null, 0, v19, s4
	s_mov_b32 s4, exec_lo
	v_cmpx_gt_u32_e32 8, v22
	s_xor_b32 s12, exec_lo, s4
	s_cbranch_execz .LBB1_318
; %bb.313:                              ;   in Loop: Header=BB1_280 Depth=1
	v_mov_b32_e32 v16, 0
	v_mov_b32_e32 v17, 0
	s_mov_b32 s13, exec_lo
	v_cmpx_ne_u32_e32 0, v22
	s_cbranch_execz .LBB1_317
; %bb.314:                              ;   in Loop: Header=BB1_280 Depth=1
	v_mov_b32_e32 v16, 0
	v_mov_b32_e32 v17, 0
	s_mov_b64 s[4:5], 0
	s_mov_b32 s17, 0
	s_mov_b64 s[10:11], 0
	.p2align	6
.LBB1_315:                              ;   Parent Loop BB1_280 Depth=1
                                        ; =>  This Inner Loop Header: Depth=2
	v_add_co_u32 v20, vcc_lo, v18, s10
	v_add_co_ci_u32_e64 v21, null, s11, v19, vcc_lo
	s_add_u32 s10, s10, 1
	s_addc_u32 s11, s11, 0
	v_cmp_eq_u32_e32 vcc_lo, s10, v22
	global_load_ubyte v6, v[20:21], off
	v_mov_b32_e32 v21, s16
	s_waitcnt vmcnt(0)
	v_and_b32_e32 v20, 0xffff, v6
	v_lshlrev_b64 v[20:21], s4, v[20:21]
	s_add_u32 s4, s4, 8
	s_addc_u32 s5, s5, 0
	s_or_b32 s17, vcc_lo, s17
	v_or_b32_e32 v17, v21, v17
	v_or_b32_e32 v16, v20, v16
	s_andn2_b32 exec_lo, exec_lo, s17
	s_cbranch_execnz .LBB1_315
; %bb.316:                              ;   in Loop: Header=BB1_280 Depth=1
	s_or_b32 exec_lo, exec_lo, s17
.LBB1_317:                              ;   in Loop: Header=BB1_280 Depth=1
	s_or_b32 exec_lo, exec_lo, s13
	v_mov_b32_e32 v21, v19
	v_mov_b32_e32 v20, v18
                                        ; implicit-def: $vgpr22
.LBB1_318:                              ;   in Loop: Header=BB1_280 Depth=1
	s_or_saveexec_b32 s4, s12
	v_mov_b32_e32 v6, 0
	s_xor_b32 exec_lo, exec_lo, s4
	s_cbranch_execz .LBB1_320
; %bb.319:                              ;   in Loop: Header=BB1_280 Depth=1
	global_load_dwordx2 v[16:17], v[18:19], off
	v_add_nc_u32_e32 v6, -8, v22
.LBB1_320:                              ;   in Loop: Header=BB1_280 Depth=1
	s_or_b32 exec_lo, exec_lo, s4
	v_add_co_u32 v22, s4, v20, 8
	v_add_co_ci_u32_e64 v23, null, 0, v21, s4
                                        ; implicit-def: $vgpr18_vgpr19
	s_mov_b32 s4, exec_lo
	v_cmpx_gt_u32_e32 8, v6
	s_xor_b32 s12, exec_lo, s4
	s_cbranch_execz .LBB1_326
; %bb.321:                              ;   in Loop: Header=BB1_280 Depth=1
	v_mov_b32_e32 v18, 0
	v_mov_b32_e32 v19, 0
	s_mov_b32 s13, exec_lo
	v_cmpx_ne_u32_e32 0, v6
	s_cbranch_execz .LBB1_325
; %bb.322:                              ;   in Loop: Header=BB1_280 Depth=1
	v_mov_b32_e32 v18, 0
	v_mov_b32_e32 v19, 0
	s_mov_b64 s[4:5], 0
	s_mov_b32 s17, 0
	s_mov_b64 s[10:11], 0
	.p2align	6
.LBB1_323:                              ;   Parent Loop BB1_280 Depth=1
                                        ; =>  This Inner Loop Header: Depth=2
	v_add_co_u32 v22, vcc_lo, v20, s10
	v_add_co_ci_u32_e64 v23, null, s11, v21, vcc_lo
	s_add_u32 s10, s10, 1
	s_addc_u32 s11, s11, 0
	v_cmp_eq_u32_e32 vcc_lo, s10, v6
	global_load_ubyte v22, v[22:23], off
	v_mov_b32_e32 v23, s16
	s_waitcnt vmcnt(0)
	v_and_b32_e32 v22, 0xffff, v22
	v_lshlrev_b64 v[22:23], s4, v[22:23]
	s_add_u32 s4, s4, 8
	s_addc_u32 s5, s5, 0
	s_or_b32 s17, vcc_lo, s17
	v_or_b32_e32 v19, v23, v19
	v_or_b32_e32 v18, v22, v18
	s_andn2_b32 exec_lo, exec_lo, s17
	s_cbranch_execnz .LBB1_323
; %bb.324:                              ;   in Loop: Header=BB1_280 Depth=1
	s_or_b32 exec_lo, exec_lo, s17
.LBB1_325:                              ;   in Loop: Header=BB1_280 Depth=1
	s_or_b32 exec_lo, exec_lo, s13
	v_mov_b32_e32 v23, v21
	v_mov_b32_e32 v22, v20
                                        ; implicit-def: $vgpr6
.LBB1_326:                              ;   in Loop: Header=BB1_280 Depth=1
	s_or_saveexec_b32 s4, s12
	v_mov_b32_e32 v24, 0
	s_xor_b32 exec_lo, exec_lo, s4
	s_cbranch_execz .LBB1_328
; %bb.327:                              ;   in Loop: Header=BB1_280 Depth=1
	global_load_dwordx2 v[18:19], v[20:21], off
	v_add_nc_u32_e32 v24, -8, v6
.LBB1_328:                              ;   in Loop: Header=BB1_280 Depth=1
	s_or_b32 exec_lo, exec_lo, s4
	s_mov_b32 s4, exec_lo
	v_cmpx_gt_u32_e32 8, v24
	s_xor_b32 s10, exec_lo, s4
	s_cbranch_execz .LBB1_334
; %bb.329:                              ;   in Loop: Header=BB1_280 Depth=1
	v_mov_b32_e32 v20, 0
	v_mov_b32_e32 v21, 0
	s_mov_b32 s11, exec_lo
	v_cmpx_ne_u32_e32 0, v24
	s_cbranch_execz .LBB1_333
; %bb.330:                              ;   in Loop: Header=BB1_280 Depth=1
	v_mov_b32_e32 v20, 0
	v_mov_b32_e32 v21, 0
	s_mov_b64 s[4:5], 0
	s_mov_b32 s12, 0
	.p2align	6
.LBB1_331:                              ;   Parent Loop BB1_280 Depth=1
                                        ; =>  This Inner Loop Header: Depth=2
	global_load_ubyte v6, v[22:23], off
	v_mov_b32_e32 v31, s16
	v_add_nc_u32_e32 v24, -1, v24
	v_add_co_u32 v22, vcc_lo, v22, 1
	v_add_co_ci_u32_e64 v23, null, 0, v23, vcc_lo
	v_cmp_eq_u32_e32 vcc_lo, 0, v24
	s_waitcnt vmcnt(0)
	v_and_b32_e32 v30, 0xffff, v6
	v_lshlrev_b64 v[30:31], s4, v[30:31]
	s_add_u32 s4, s4, 8
	s_addc_u32 s5, s5, 0
	s_or_b32 s12, vcc_lo, s12
	v_or_b32_e32 v21, v31, v21
	v_or_b32_e32 v20, v30, v20
	s_andn2_b32 exec_lo, exec_lo, s12
	s_cbranch_execnz .LBB1_331
; %bb.332:                              ;   in Loop: Header=BB1_280 Depth=1
	s_or_b32 exec_lo, exec_lo, s12
.LBB1_333:                              ;   in Loop: Header=BB1_280 Depth=1
	s_or_b32 exec_lo, exec_lo, s11
                                        ; implicit-def: $vgpr22_vgpr23
.LBB1_334:                              ;   in Loop: Header=BB1_280 Depth=1
	s_andn2_saveexec_b32 s4, s10
	s_cbranch_execz .LBB1_336
; %bb.335:                              ;   in Loop: Header=BB1_280 Depth=1
	global_load_dwordx2 v[20:21], v[22:23], off
.LBB1_336:                              ;   in Loop: Header=BB1_280 Depth=1
	s_or_b32 exec_lo, exec_lo, s4
	v_readfirstlane_b32 s4, v32
	v_mov_b32_e32 v30, 0
	v_mov_b32_e32 v31, 0
	v_cmp_eq_u32_e64 s4, s4, v32
	s_and_saveexec_b32 s5, s4
	s_cbranch_execz .LBB1_342
; %bb.337:                              ;   in Loop: Header=BB1_280 Depth=1
	global_load_dwordx2 v[24:25], v7, s[6:7] offset:24 glc dlc
	s_waitcnt vmcnt(0)
	buffer_gl1_inv
	buffer_gl0_inv
	s_clause 0x1
	global_load_dwordx2 v[22:23], v7, s[6:7] offset:40
	global_load_dwordx2 v[30:31], v7, s[6:7]
	s_mov_b32 s10, exec_lo
	s_waitcnt vmcnt(1)
	v_and_b32_e32 v6, v23, v25
	v_and_b32_e32 v22, v22, v24
	v_mul_lo_u32 v6, v6, 24
	v_mul_hi_u32 v23, v22, 24
	v_mul_lo_u32 v22, v22, 24
	v_add_nc_u32_e32 v6, v23, v6
	s_waitcnt vmcnt(0)
	v_add_co_u32 v22, vcc_lo, v30, v22
	v_add_co_ci_u32_e64 v23, null, v31, v6, vcc_lo
	global_load_dwordx2 v[22:23], v[22:23], off glc dlc
	s_waitcnt vmcnt(0)
	global_atomic_cmpswap_x2 v[30:31], v7, v[22:25], s[6:7] offset:24 glc
	s_waitcnt vmcnt(0)
	buffer_gl1_inv
	buffer_gl0_inv
	v_cmpx_ne_u64_e64 v[30:31], v[24:25]
	s_cbranch_execz .LBB1_341
; %bb.338:                              ;   in Loop: Header=BB1_280 Depth=1
	s_mov_b32 s11, 0
	.p2align	6
.LBB1_339:                              ;   Parent Loop BB1_280 Depth=1
                                        ; =>  This Inner Loop Header: Depth=2
	s_sleep 1
	s_clause 0x1
	global_load_dwordx2 v[22:23], v7, s[6:7] offset:40
	global_load_dwordx2 v[35:36], v7, s[6:7]
	v_mov_b32_e32 v24, v30
	v_mov_b32_e32 v25, v31
	s_waitcnt vmcnt(1)
	v_and_b32_e32 v6, v22, v24
	v_and_b32_e32 v22, v23, v25
	s_waitcnt vmcnt(0)
	v_mad_u64_u32 v[30:31], null, v6, 24, v[35:36]
	v_mov_b32_e32 v6, v31
	v_mad_u64_u32 v[22:23], null, v22, 24, v[6:7]
	v_mov_b32_e32 v31, v22
	global_load_dwordx2 v[22:23], v[30:31], off glc dlc
	s_waitcnt vmcnt(0)
	global_atomic_cmpswap_x2 v[30:31], v7, v[22:25], s[6:7] offset:24 glc
	s_waitcnt vmcnt(0)
	buffer_gl1_inv
	buffer_gl0_inv
	v_cmp_eq_u64_e32 vcc_lo, v[30:31], v[24:25]
	s_or_b32 s11, vcc_lo, s11
	s_andn2_b32 exec_lo, exec_lo, s11
	s_cbranch_execnz .LBB1_339
; %bb.340:                              ;   in Loop: Header=BB1_280 Depth=1
	s_or_b32 exec_lo, exec_lo, s11
.LBB1_341:                              ;   in Loop: Header=BB1_280 Depth=1
	s_or_b32 exec_lo, exec_lo, s10
.LBB1_342:                              ;   in Loop: Header=BB1_280 Depth=1
	s_or_b32 exec_lo, exec_lo, s5
	s_clause 0x1
	global_load_dwordx2 v[35:36], v7, s[6:7] offset:40
	global_load_dwordx4 v[22:25], v7, s[6:7]
	v_readfirstlane_b32 s11, v31
	v_readfirstlane_b32 s10, v30
	s_mov_b32 s5, exec_lo
	s_waitcnt vmcnt(1)
	v_readfirstlane_b32 s12, v35
	v_readfirstlane_b32 s13, v36
	s_and_b64 s[12:13], s[12:13], s[10:11]
	s_mul_i32 s17, s13, 24
	s_mul_hi_u32 s18, s12, 24
	s_mul_i32 s19, s12, 24
	s_add_i32 s18, s18, s17
	s_waitcnt vmcnt(0)
	v_add_co_u32 v30, vcc_lo, v22, s19
	v_add_co_ci_u32_e64 v31, null, s18, v23, vcc_lo
	s_and_saveexec_b32 s17, s4
	s_cbranch_execz .LBB1_344
; %bb.343:                              ;   in Loop: Header=BB1_280 Depth=1
	v_mov_b32_e32 v6, s5
	global_store_dwordx4 v[30:31], v[6:9], off offset:8
.LBB1_344:                              ;   in Loop: Header=BB1_280 Depth=1
	s_or_b32 exec_lo, exec_lo, s17
	v_cmp_gt_u64_e32 vcc_lo, 57, v[26:27]
	s_lshl_b64 s[12:13], s[12:13], 12
	v_and_b32_e32 v0, 0xffffff1f, v0
	v_lshl_add_u32 v35, v28, 2, 28
	v_cndmask_b32_e32 v6, 0, v34, vcc_lo
	v_add_co_u32 v24, vcc_lo, v24, s12
	v_add_co_ci_u32_e64 v25, null, s13, v25, vcc_lo
	v_or_b32_e32 v0, v0, v6
	v_readfirstlane_b32 s12, v24
	v_readfirstlane_b32 s13, v25
	v_and_or_b32 v0, 0x1e0, v35, v0
	global_store_dwordx4 v33, v[10:13], s[12:13] offset:16
	global_store_dwordx4 v33, v[14:17], s[12:13] offset:32
	global_store_dwordx4 v33, v[0:3], s[12:13]
	global_store_dwordx4 v33, v[18:21], s[12:13] offset:48
	s_and_saveexec_b32 s5, s4
	s_cbranch_execz .LBB1_352
; %bb.345:                              ;   in Loop: Header=BB1_280 Depth=1
	s_clause 0x1
	global_load_dwordx2 v[14:15], v7, s[6:7] offset:32 glc dlc
	global_load_dwordx2 v[0:1], v7, s[6:7] offset:40
	v_mov_b32_e32 v12, s10
	v_mov_b32_e32 v13, s11
	s_waitcnt vmcnt(0)
	v_readfirstlane_b32 s12, v0
	v_readfirstlane_b32 s13, v1
	s_and_b64 s[12:13], s[12:13], s[10:11]
	s_mul_i32 s13, s13, 24
	s_mul_hi_u32 s17, s12, 24
	s_mul_i32 s12, s12, 24
	s_add_i32 s17, s17, s13
	v_add_co_u32 v10, vcc_lo, v22, s12
	v_add_co_ci_u32_e64 v11, null, s17, v23, vcc_lo
	s_mov_b32 s12, exec_lo
	global_store_dwordx2 v[10:11], v[14:15], off
	s_waitcnt_vscnt null, 0x0
	global_atomic_cmpswap_x2 v[2:3], v7, v[12:15], s[6:7] offset:32 glc
	s_waitcnt vmcnt(0)
	v_cmpx_ne_u64_e64 v[2:3], v[14:15]
	s_cbranch_execz .LBB1_348
; %bb.346:                              ;   in Loop: Header=BB1_280 Depth=1
	s_mov_b32 s13, 0
.LBB1_347:                              ;   Parent Loop BB1_280 Depth=1
                                        ; =>  This Inner Loop Header: Depth=2
	v_mov_b32_e32 v0, s10
	v_mov_b32_e32 v1, s11
	s_sleep 1
	global_store_dwordx2 v[10:11], v[2:3], off
	s_waitcnt_vscnt null, 0x0
	global_atomic_cmpswap_x2 v[0:1], v7, v[0:3], s[6:7] offset:32 glc
	s_waitcnt vmcnt(0)
	v_cmp_eq_u64_e32 vcc_lo, v[0:1], v[2:3]
	v_mov_b32_e32 v3, v1
	v_mov_b32_e32 v2, v0
	s_or_b32 s13, vcc_lo, s13
	s_andn2_b32 exec_lo, exec_lo, s13
	s_cbranch_execnz .LBB1_347
.LBB1_348:                              ;   in Loop: Header=BB1_280 Depth=1
	s_or_b32 exec_lo, exec_lo, s12
	global_load_dwordx2 v[0:1], v7, s[6:7] offset:16
	s_mov_b32 s13, exec_lo
	s_mov_b32 s12, exec_lo
	v_mbcnt_lo_u32_b32 v2, s13, 0
	v_cmpx_eq_u32_e32 0, v2
	s_cbranch_execz .LBB1_350
; %bb.349:                              ;   in Loop: Header=BB1_280 Depth=1
	s_bcnt1_i32_b32 s13, s13
	v_mov_b32_e32 v6, s13
	s_waitcnt vmcnt(0)
	global_atomic_add_x2 v[0:1], v[6:7], off offset:8
.LBB1_350:                              ;   in Loop: Header=BB1_280 Depth=1
	s_or_b32 exec_lo, exec_lo, s12
	s_waitcnt vmcnt(0)
	global_load_dwordx2 v[2:3], v[0:1], off offset:16
	s_waitcnt vmcnt(0)
	v_cmp_eq_u64_e32 vcc_lo, 0, v[2:3]
	s_cbranch_vccnz .LBB1_352
; %bb.351:                              ;   in Loop: Header=BB1_280 Depth=1
	global_load_dword v6, v[0:1], off offset:24
	s_waitcnt vmcnt(0)
	v_readfirstlane_b32 s12, v6
	s_waitcnt_vscnt null, 0x0
	global_store_dwordx2 v[2:3], v[6:7], off
	s_and_b32 m0, s12, 0x7fffff
	s_sendmsg sendmsg(MSG_INTERRUPT)
.LBB1_352:                              ;   in Loop: Header=BB1_280 Depth=1
	s_or_b32 exec_lo, exec_lo, s5
	v_add_co_u32 v0, vcc_lo, v24, v33
	v_add_co_ci_u32_e64 v1, null, 0, v25, vcc_lo
	s_branch .LBB1_356
	.p2align	6
.LBB1_353:                              ;   in Loop: Header=BB1_356 Depth=2
	s_or_b32 exec_lo, exec_lo, s5
	v_readfirstlane_b32 s5, v2
	s_cmp_eq_u32 s5, 0
	s_cbranch_scc1 .LBB1_355
; %bb.354:                              ;   in Loop: Header=BB1_356 Depth=2
	s_sleep 1
	s_cbranch_execnz .LBB1_356
	s_branch .LBB1_358
	.p2align	6
.LBB1_355:                              ;   in Loop: Header=BB1_280 Depth=1
	s_branch .LBB1_358
.LBB1_356:                              ;   Parent Loop BB1_280 Depth=1
                                        ; =>  This Inner Loop Header: Depth=2
	v_mov_b32_e32 v2, 1
	s_and_saveexec_b32 s5, s4
	s_cbranch_execz .LBB1_353
; %bb.357:                              ;   in Loop: Header=BB1_356 Depth=2
	global_load_dword v2, v[30:31], off offset:20 glc dlc
	s_waitcnt vmcnt(0)
	buffer_gl1_inv
	buffer_gl0_inv
	v_and_b32_e32 v2, 1, v2
	s_branch .LBB1_353
.LBB1_358:                              ;   in Loop: Header=BB1_280 Depth=1
	global_load_dwordx2 v[0:1], v[0:1], off
	s_and_saveexec_b32 s12, s4
	s_cbranch_execz .LBB1_279
; %bb.359:                              ;   in Loop: Header=BB1_280 Depth=1
	s_clause 0x2
	global_load_dwordx2 v[2:3], v7, s[6:7] offset:40
	global_load_dwordx2 v[14:15], v7, s[6:7] offset:24 glc dlc
	global_load_dwordx2 v[10:11], v7, s[6:7]
	s_waitcnt vmcnt(2)
	v_readfirstlane_b32 s18, v2
	v_readfirstlane_b32 s19, v3
	s_add_u32 s13, s18, 1
	s_addc_u32 s17, s19, 0
	s_add_u32 s4, s13, s10
	s_addc_u32 s5, s17, s11
	s_cmp_eq_u64 s[4:5], 0
	s_cselect_b32 s5, s17, s5
	s_cselect_b32 s4, s13, s4
	v_mov_b32_e32 v13, s5
	s_and_b64 s[10:11], s[4:5], s[18:19]
	v_mov_b32_e32 v12, s4
	s_mul_i32 s11, s11, 24
	s_mul_hi_u32 s13, s10, 24
	s_mul_i32 s10, s10, 24
	s_add_i32 s13, s13, s11
	s_waitcnt vmcnt(0)
	v_add_co_u32 v2, vcc_lo, v10, s10
	v_add_co_ci_u32_e64 v3, null, s13, v11, vcc_lo
	global_store_dwordx2 v[2:3], v[14:15], off
	s_waitcnt_vscnt null, 0x0
	global_atomic_cmpswap_x2 v[12:13], v7, v[12:15], s[6:7] offset:24 glc
	s_waitcnt vmcnt(0)
	v_cmp_ne_u64_e32 vcc_lo, v[12:13], v[14:15]
	s_and_b32 exec_lo, exec_lo, vcc_lo
	s_cbranch_execz .LBB1_279
; %bb.360:                              ;   in Loop: Header=BB1_280 Depth=1
	s_mov_b32 s10, 0
.LBB1_361:                              ;   Parent Loop BB1_280 Depth=1
                                        ; =>  This Inner Loop Header: Depth=2
	v_mov_b32_e32 v10, s4
	v_mov_b32_e32 v11, s5
	s_sleep 1
	global_store_dwordx2 v[2:3], v[12:13], off
	s_waitcnt_vscnt null, 0x0
	global_atomic_cmpswap_x2 v[10:11], v7, v[10:13], s[6:7] offset:24 glc
	s_waitcnt vmcnt(0)
	v_cmp_eq_u64_e32 vcc_lo, v[10:11], v[12:13]
	v_mov_b32_e32 v13, v11
	v_mov_b32_e32 v12, v10
	s_or_b32 s10, vcc_lo, s10
	s_andn2_b32 exec_lo, exec_lo, s10
	s_cbranch_execnz .LBB1_361
	s_branch .LBB1_279
.LBB1_362:
	s_or_b32 exec_lo, exec_lo, s15
                                        ; implicit-def: $vgpr33
                                        ; implicit-def: $vgpr32
.LBB1_363:
	s_andn2_saveexec_b32 s14, s14
	s_cbranch_execz .LBB1_391
; %bb.364:
	v_readfirstlane_b32 s4, v32
	v_mov_b32_e32 v8, 0
	v_mov_b32_e32 v9, 0
	v_cmp_eq_u32_e64 s4, s4, v32
	s_and_saveexec_b32 s5, s4
	s_cbranch_execz .LBB1_370
; %bb.365:
	v_mov_b32_e32 v2, 0
	s_mov_b32 s10, exec_lo
	global_load_dwordx2 v[5:6], v2, s[6:7] offset:24 glc dlc
	s_waitcnt vmcnt(0)
	buffer_gl1_inv
	buffer_gl0_inv
	s_clause 0x1
	global_load_dwordx2 v[3:4], v2, s[6:7] offset:40
	global_load_dwordx2 v[7:8], v2, s[6:7]
	s_waitcnt vmcnt(1)
	v_and_b32_e32 v4, v4, v6
	v_and_b32_e32 v3, v3, v5
	v_mul_lo_u32 v4, v4, 24
	v_mul_hi_u32 v9, v3, 24
	v_mul_lo_u32 v3, v3, 24
	v_add_nc_u32_e32 v4, v9, v4
	s_waitcnt vmcnt(0)
	v_add_co_u32 v3, vcc_lo, v7, v3
	v_add_co_ci_u32_e64 v4, null, v8, v4, vcc_lo
	global_load_dwordx2 v[3:4], v[3:4], off glc dlc
	s_waitcnt vmcnt(0)
	global_atomic_cmpswap_x2 v[8:9], v2, v[3:6], s[6:7] offset:24 glc
	s_waitcnt vmcnt(0)
	buffer_gl1_inv
	buffer_gl0_inv
	v_cmpx_ne_u64_e64 v[8:9], v[5:6]
	s_cbranch_execz .LBB1_369
; %bb.366:
	s_mov_b32 s11, 0
	.p2align	6
.LBB1_367:                              ; =>This Inner Loop Header: Depth=1
	s_sleep 1
	s_clause 0x1
	global_load_dwordx2 v[3:4], v2, s[6:7] offset:40
	global_load_dwordx2 v[10:11], v2, s[6:7]
	v_mov_b32_e32 v5, v8
	v_mov_b32_e32 v6, v9
	s_waitcnt vmcnt(1)
	v_and_b32_e32 v3, v3, v5
	v_and_b32_e32 v4, v4, v6
	s_waitcnt vmcnt(0)
	v_mad_u64_u32 v[7:8], null, v3, 24, v[10:11]
	v_mov_b32_e32 v3, v8
	v_mad_u64_u32 v[3:4], null, v4, 24, v[3:4]
	v_mov_b32_e32 v8, v3
	global_load_dwordx2 v[3:4], v[7:8], off glc dlc
	s_waitcnt vmcnt(0)
	global_atomic_cmpswap_x2 v[8:9], v2, v[3:6], s[6:7] offset:24 glc
	s_waitcnt vmcnt(0)
	buffer_gl1_inv
	buffer_gl0_inv
	v_cmp_eq_u64_e32 vcc_lo, v[8:9], v[5:6]
	s_or_b32 s11, vcc_lo, s11
	s_andn2_b32 exec_lo, exec_lo, s11
	s_cbranch_execnz .LBB1_367
; %bb.368:
	s_or_b32 exec_lo, exec_lo, s11
.LBB1_369:
	s_or_b32 exec_lo, exec_lo, s10
.LBB1_370:
	s_or_b32 exec_lo, exec_lo, s5
	v_mov_b32_e32 v2, 0
	v_readfirstlane_b32 s11, v9
	v_readfirstlane_b32 s10, v8
	s_mov_b32 s5, exec_lo
	s_clause 0x1
	global_load_dwordx2 v[10:11], v2, s[6:7] offset:40
	global_load_dwordx4 v[4:7], v2, s[6:7]
	s_waitcnt vmcnt(1)
	v_readfirstlane_b32 s12, v10
	v_readfirstlane_b32 s13, v11
	s_and_b64 s[12:13], s[12:13], s[10:11]
	s_mul_i32 s15, s13, 24
	s_mul_hi_u32 s16, s12, 24
	s_mul_i32 s17, s12, 24
	s_add_i32 s16, s16, s15
	s_waitcnt vmcnt(0)
	v_add_co_u32 v8, vcc_lo, v4, s17
	v_add_co_ci_u32_e64 v9, null, s16, v5, vcc_lo
	s_and_saveexec_b32 s15, s4
	s_cbranch_execz .LBB1_372
; %bb.371:
	v_mov_b32_e32 v10, s5
	v_mov_b32_e32 v11, v2
	;; [unrolled: 1-line block ×4, first 2 shown]
	global_store_dwordx4 v[8:9], v[10:13], off offset:8
.LBB1_372:
	s_or_b32 exec_lo, exec_lo, s15
	s_lshl_b64 s[12:13], s[12:13], 12
	s_mov_b32 s16, 0
	v_add_co_u32 v6, vcc_lo, v6, s12
	v_add_co_ci_u32_e64 v7, null, s13, v7, vcc_lo
	s_mov_b32 s17, s16
	v_readfirstlane_b32 s12, v6
	v_add_co_u32 v6, vcc_lo, v6, v33
	s_mov_b32 s18, s16
	s_mov_b32 s19, s16
	v_and_or_b32 v0, 0xffffff1f, v0, 32
	v_mov_b32_e32 v3, v2
	v_readfirstlane_b32 s13, v7
	v_mov_b32_e32 v10, s16
	v_add_co_ci_u32_e64 v7, null, 0, v7, vcc_lo
	v_mov_b32_e32 v11, s17
	v_mov_b32_e32 v12, s18
	;; [unrolled: 1-line block ×3, first 2 shown]
	global_store_dwordx4 v33, v[0:3], s[12:13]
	global_store_dwordx4 v33, v[10:13], s[12:13] offset:16
	global_store_dwordx4 v33, v[10:13], s[12:13] offset:32
	;; [unrolled: 1-line block ×3, first 2 shown]
	s_and_saveexec_b32 s5, s4
	s_cbranch_execz .LBB1_380
; %bb.373:
	v_mov_b32_e32 v10, 0
	v_mov_b32_e32 v11, s10
	;; [unrolled: 1-line block ×3, first 2 shown]
	s_clause 0x1
	global_load_dwordx2 v[13:14], v10, s[6:7] offset:32 glc dlc
	global_load_dwordx2 v[0:1], v10, s[6:7] offset:40
	s_waitcnt vmcnt(0)
	v_readfirstlane_b32 s12, v0
	v_readfirstlane_b32 s13, v1
	s_and_b64 s[12:13], s[12:13], s[10:11]
	s_mul_i32 s13, s13, 24
	s_mul_hi_u32 s15, s12, 24
	s_mul_i32 s12, s12, 24
	s_add_i32 s15, s15, s13
	v_add_co_u32 v4, vcc_lo, v4, s12
	v_add_co_ci_u32_e64 v5, null, s15, v5, vcc_lo
	s_mov_b32 s12, exec_lo
	global_store_dwordx2 v[4:5], v[13:14], off
	s_waitcnt_vscnt null, 0x0
	global_atomic_cmpswap_x2 v[2:3], v10, v[11:14], s[6:7] offset:32 glc
	s_waitcnt vmcnt(0)
	v_cmpx_ne_u64_e64 v[2:3], v[13:14]
	s_cbranch_execz .LBB1_376
; %bb.374:
	s_mov_b32 s13, 0
.LBB1_375:                              ; =>This Inner Loop Header: Depth=1
	v_mov_b32_e32 v0, s10
	v_mov_b32_e32 v1, s11
	s_sleep 1
	global_store_dwordx2 v[4:5], v[2:3], off
	s_waitcnt_vscnt null, 0x0
	global_atomic_cmpswap_x2 v[0:1], v10, v[0:3], s[6:7] offset:32 glc
	s_waitcnt vmcnt(0)
	v_cmp_eq_u64_e32 vcc_lo, v[0:1], v[2:3]
	v_mov_b32_e32 v3, v1
	v_mov_b32_e32 v2, v0
	s_or_b32 s13, vcc_lo, s13
	s_andn2_b32 exec_lo, exec_lo, s13
	s_cbranch_execnz .LBB1_375
.LBB1_376:
	s_or_b32 exec_lo, exec_lo, s12
	v_mov_b32_e32 v3, 0
	s_mov_b32 s13, exec_lo
	s_mov_b32 s12, exec_lo
	v_mbcnt_lo_u32_b32 v2, s13, 0
	global_load_dwordx2 v[0:1], v3, s[6:7] offset:16
	v_cmpx_eq_u32_e32 0, v2
	s_cbranch_execz .LBB1_378
; %bb.377:
	s_bcnt1_i32_b32 s13, s13
	v_mov_b32_e32 v2, s13
	s_waitcnt vmcnt(0)
	global_atomic_add_x2 v[0:1], v[2:3], off offset:8
.LBB1_378:
	s_or_b32 exec_lo, exec_lo, s12
	s_waitcnt vmcnt(0)
	global_load_dwordx2 v[2:3], v[0:1], off offset:16
	s_waitcnt vmcnt(0)
	v_cmp_eq_u64_e32 vcc_lo, 0, v[2:3]
	s_cbranch_vccnz .LBB1_380
; %bb.379:
	global_load_dword v0, v[0:1], off offset:24
	v_mov_b32_e32 v1, 0
	s_waitcnt vmcnt(0)
	v_readfirstlane_b32 s12, v0
	s_waitcnt_vscnt null, 0x0
	global_store_dwordx2 v[2:3], v[0:1], off
	s_and_b32 m0, s12, 0x7fffff
	s_sendmsg sendmsg(MSG_INTERRUPT)
.LBB1_380:
	s_or_b32 exec_lo, exec_lo, s5
	s_branch .LBB1_384
	.p2align	6
.LBB1_381:                              ;   in Loop: Header=BB1_384 Depth=1
	s_or_b32 exec_lo, exec_lo, s5
	v_readfirstlane_b32 s5, v0
	s_cmp_eq_u32 s5, 0
	s_cbranch_scc1 .LBB1_383
; %bb.382:                              ;   in Loop: Header=BB1_384 Depth=1
	s_sleep 1
	s_cbranch_execnz .LBB1_384
	s_branch .LBB1_386
	.p2align	6
.LBB1_383:
	s_branch .LBB1_386
.LBB1_384:                              ; =>This Inner Loop Header: Depth=1
	v_mov_b32_e32 v0, 1
	s_and_saveexec_b32 s5, s4
	s_cbranch_execz .LBB1_381
; %bb.385:                              ;   in Loop: Header=BB1_384 Depth=1
	global_load_dword v0, v[8:9], off offset:20 glc dlc
	s_waitcnt vmcnt(0)
	buffer_gl1_inv
	buffer_gl0_inv
	v_and_b32_e32 v0, 1, v0
	s_branch .LBB1_381
.LBB1_386:
	global_load_dwordx2 v[0:1], v[6:7], off
	s_and_saveexec_b32 s12, s4
	s_cbranch_execz .LBB1_390
; %bb.387:
	v_mov_b32_e32 v8, 0
	s_clause 0x2
	global_load_dwordx2 v[2:3], v8, s[6:7] offset:40
	global_load_dwordx2 v[11:12], v8, s[6:7] offset:24 glc dlc
	global_load_dwordx2 v[4:5], v8, s[6:7]
	s_waitcnt vmcnt(2)
	v_readfirstlane_b32 s16, v2
	v_readfirstlane_b32 s17, v3
	s_add_u32 s13, s16, 1
	s_addc_u32 s15, s17, 0
	s_add_u32 s4, s13, s10
	s_addc_u32 s5, s15, s11
	s_cmp_eq_u64 s[4:5], 0
	s_cselect_b32 s5, s15, s5
	s_cselect_b32 s4, s13, s4
	v_mov_b32_e32 v10, s5
	s_and_b64 s[10:11], s[4:5], s[16:17]
	v_mov_b32_e32 v9, s4
	s_mul_i32 s11, s11, 24
	s_mul_hi_u32 s13, s10, 24
	s_mul_i32 s10, s10, 24
	s_add_i32 s13, s13, s11
	s_waitcnt vmcnt(0)
	v_add_co_u32 v6, vcc_lo, v4, s10
	v_add_co_ci_u32_e64 v7, null, s13, v5, vcc_lo
	global_store_dwordx2 v[6:7], v[11:12], off
	s_waitcnt_vscnt null, 0x0
	global_atomic_cmpswap_x2 v[4:5], v8, v[9:12], s[6:7] offset:24 glc
	s_waitcnt vmcnt(0)
	v_cmp_ne_u64_e32 vcc_lo, v[4:5], v[11:12]
	s_and_b32 exec_lo, exec_lo, vcc_lo
	s_cbranch_execz .LBB1_390
; %bb.388:
	s_mov_b32 s10, 0
.LBB1_389:                              ; =>This Inner Loop Header: Depth=1
	v_mov_b32_e32 v2, s4
	v_mov_b32_e32 v3, s5
	s_sleep 1
	global_store_dwordx2 v[6:7], v[4:5], off
	s_waitcnt_vscnt null, 0x0
	global_atomic_cmpswap_x2 v[2:3], v8, v[2:5], s[6:7] offset:24 glc
	s_waitcnt vmcnt(0)
	v_cmp_eq_u64_e32 vcc_lo, v[2:3], v[4:5]
	v_mov_b32_e32 v5, v3
	v_mov_b32_e32 v4, v2
	s_or_b32 s10, vcc_lo, s10
	s_andn2_b32 exec_lo, exec_lo, s10
	s_cbranch_execnz .LBB1_389
.LBB1_390:
	s_or_b32 exec_lo, exec_lo, s12
.LBB1_391:
	s_or_b32 exec_lo, exec_lo, s14
	s_getpc_b64 s[4:5]
	s_add_u32 s4, s4, .str.3@rel32@lo+4
	s_addc_u32 s5, s5, .str.3@rel32@hi+12
	s_getpc_b64 s[6:7]
	s_add_u32 s6, s6, .str.3@rel32@lo+32
	s_addc_u32 s7, s7, .str.3@rel32@hi+40
	s_sub_i32 s10, s6, s4
	s_getpc_b64 s[6:7]
	s_add_u32 s6, s6, __ockl_fprintf_append_string_n@rel32@lo+4
	s_addc_u32 s7, s7, __ockl_fprintf_append_string_n@rel32@hi+12
	s_ashr_i32 s11, s10, 31
	v_mov_b32_e32 v2, s4
	v_mov_b32_e32 v3, s5
	;; [unrolled: 1-line block ×5, first 2 shown]
	s_swappc_b64 s[30:31], s[6:7]
	s_trap 2
.Lfunc_end1:
	.size	__assert_fail, .Lfunc_end1-__assert_fail
                                        ; -- End function
	.set .L__assert_fail.num_vgpr, max(40, .L__ockl_fprintf_append_string_n.num_vgpr)
	.set .L__assert_fail.num_agpr, max(0, .L__ockl_fprintf_append_string_n.num_agpr)
	.set .L__assert_fail.numbered_sgpr, max(34, .L__ockl_fprintf_append_string_n.numbered_sgpr)
	.set .L__assert_fail.num_named_barrier, max(0, .L__ockl_fprintf_append_string_n.num_named_barrier)
	.set .L__assert_fail.private_seg_size, 64+max(.L__ockl_fprintf_append_string_n.private_seg_size)
	.set .L__assert_fail.uses_vcc, or(1, .L__ockl_fprintf_append_string_n.uses_vcc)
	.set .L__assert_fail.uses_flat_scratch, or(0, .L__ockl_fprintf_append_string_n.uses_flat_scratch)
	.set .L__assert_fail.has_dyn_sized_stack, or(0, .L__ockl_fprintf_append_string_n.has_dyn_sized_stack)
	.set .L__assert_fail.has_recursion, or(0, .L__ockl_fprintf_append_string_n.has_recursion)
	.set .L__assert_fail.has_indirect_call, or(0, .L__ockl_fprintf_append_string_n.has_indirect_call)
	.section	.AMDGPU.csdata,"",@progbits
; Function info:
; codeLenInByte = 15432
; TotalNumSgprs: 36
; NumVgprs: 40
; ScratchSize: 64
; MemoryBound: 0
	.text
	.p2align	2                               ; -- Begin function _ZN12_GLOBAL__N_17runRingIh10FuncMinMaxIhE11ProtoSimpleILi2ELi2ELi0ELi1ELi0ELi0EELi0ELi0ELi1ELi0EEEviiP15ncclDevWorkColl
	.type	_ZN12_GLOBAL__N_17runRingIh10FuncMinMaxIhE11ProtoSimpleILi2ELi2ELi0ELi1ELi0ELi0EELi0ELi0ELi1ELi0EEEviiP15ncclDevWorkColl,@function
_ZN12_GLOBAL__N_17runRingIh10FuncMinMaxIhE11ProtoSimpleILi2ELi2ELi0ELi1ELi0ELi0EELi0ELi0ELi1ELi0EEEviiP15ncclDevWorkColl: ; @_ZN12_GLOBAL__N_17runRingIh10FuncMinMaxIhE11ProtoSimpleILi2ELi2ELi0ELi1ELi0ELi0EELi0ELi0ELi1ELi0EEEviiP15ncclDevWorkColl
; %bb.0:
	s_waitcnt vmcnt(0) expcnt(0) lgkmcnt(0)
	s_mov_b32 s88, s33
	s_mov_b32 s33, s32
	s_or_saveexec_b32 s4, -1
	buffer_store_dword v125, off, s[0:3], s33 offset:180 ; 4-byte Folded Spill
	s_mov_b32 exec_lo, s4
	s_addk_i32 s32, 0x1800
	buffer_store_dword v40, off, s[0:3], s33 offset:176 ; 4-byte Folded Spill
	buffer_store_dword v41, off, s[0:3], s33 offset:172 ; 4-byte Folded Spill
	;; [unrolled: 1-line block ×44, first 2 shown]
	buffer_store_dword v124, off, s[0:3], s33 ; 4-byte Folded Spill
	v_writelane_b32 v125, s30, 0
	v_writelane_b32 v125, s31, 1
	s_trap 2
	flat_load_dword v9, v[2:3]
	ds_read_b32 v6, v0
                                        ; implicit-def: $vgpr28_vgpr29
                                        ; implicit-def: $vgpr14_vgpr15
                                        ; implicit-def: $vgpr4_vgpr5
	s_waitcnt lgkmcnt(0)
	v_readfirstlane_b32 s25, v6
	s_waitcnt vmcnt(0)
	v_cmp_ne_u32_sdwa s4, v6, v9 src0_sel:DWORD src1_sel:BYTE_0
	s_and_saveexec_b32 s5, s4
	s_xor_b32 s4, exec_lo, s5
	s_cbranch_execz .LBB2_6
; %bb.1:
	v_not_b32_sdwa v8, v9 dst_sel:DWORD dst_unused:UNUSED_PAD src0_sel:BYTE_0
	v_cmp_ne_u32_sdwa s5, v6, v9 src0_sel:DWORD src1_sel:BYTE_1
                                        ; implicit-def: $vgpr28_vgpr29
                                        ; implicit-def: $vgpr14_vgpr15
                                        ; implicit-def: $vgpr4_vgpr5
	s_and_saveexec_b32 s6, s5
	s_xor_b32 s5, exec_lo, s6
	s_cbranch_execz .LBB2_3
; %bb.2:
	s_clause 0x1
	flat_load_dwordx4 v[9:12], v[2:3] offset:72
	flat_load_dwordx2 v[4:5], v[2:3] offset:96
	v_add_nc_u32_e32 v6, v6, v8
                                        ; implicit-def: $vgpr8
	v_ashrrev_i32_e32 v7, 31, v6
	s_waitcnt vmcnt(1) lgkmcnt(1)
	v_mul_lo_u32 v7, v11, v7
	v_mad_u64_u32 v[14:15], null, v11, v6, v[9:10]
	v_mul_lo_u32 v6, v12, v6
	s_waitcnt vmcnt(0) lgkmcnt(0)
	v_lshrrev_b64 v[28:29], 12, v[4:5]
	v_mov_b32_e32 v4, v11
	v_mov_b32_e32 v5, v12
                                        ; implicit-def: $vgpr9
	v_add3_u32 v15, v6, v15, v7
.LBB2_3:
	s_andn2_saveexec_b32 s5, s5
	s_cbranch_execz .LBB2_5
; %bb.4:
	s_clause 0x1
	flat_load_dwordx4 v[10:13], v[2:3] offset:72
	flat_load_dwordx4 v[4:7], v[2:3] offset:88
	s_waitcnt vmcnt(0) lgkmcnt(0)
	v_add_nc_u32_sdwa v6, v9, v8 dst_sel:DWORD dst_unused:UNUSED_PAD src0_sel:BYTE_1 src1_sel:DWORD
	v_ashrrev_i32_e32 v8, 31, v6
	v_mul_lo_u32 v8, v12, v8
	v_mad_u64_u32 v[14:15], null, v12, v6, v[10:11]
	v_mul_lo_u32 v6, v13, v6
	v_lshrrev_b32_e32 v28, 1, v7
	v_add3_u32 v15, v6, v15, v8
.LBB2_5:
	s_or_b32 exec_lo, exec_lo, s5
.LBB2_6:
	s_andn2_saveexec_b32 s4, s4
	s_cbranch_execz .LBB2_8
; %bb.7:
	s_clause 0x1
	flat_load_dwordx2 v[6:7], v[2:3] offset:96
	flat_load_dwordx2 v[4:5], v[2:3] offset:72
	v_mov_b32_e32 v14, 0
	v_mov_b32_e32 v15, 0
	s_waitcnt vmcnt(1) lgkmcnt(1)
	v_lshlrev_b64 v[28:29], 9, v[6:7]
.LBB2_8:
	s_or_b32 exec_lo, exec_lo, s4
	s_trap 2
	ds_read_b64 v[6:7], v0
	s_mov_b32 s5, exec_lo
	s_waitcnt lgkmcnt(0)
	v_cmp_ne_u32_e32 vcc_lo, -1, v6
	v_cndmask_b32_e64 v34, 0, 1, vcc_lo
	v_cmp_ne_u32_e32 vcc_lo, -1, v7
	v_add_co_ci_u32_e64 v8, null, 0, v34, vcc_lo
	v_lshlrev_b32_e32 v6, 1, v8
	v_cmpx_le_u32_e64 v6, v1
	s_xor_b32 s24, exec_lo, s5
	s_cbranch_execz .LBB2_1244
; %bb.9:
	s_clause 0x3
	flat_load_dwordx4 v[10:13], v[2:3] offset:16
	flat_load_dwordx2 v[29:30], v[2:3] offset:104
	flat_load_ushort v7, v[2:3] offset:8
	flat_load_dword v6, v[2:3] offset:4
	s_trap 2
	s_load_dword s4, s[8:9], 0x0
	v_mov_b32_e32 v9, 0
	v_mov_b32_e32 v71, 4
	s_waitcnt lgkmcnt(0)
	s_cmp_lt_u32 s12, s4
	s_cselect_b32 s4, 12, 18
	s_add_u32 s4, s8, s4
	s_addc_u32 s5, s9, 0
	global_load_ushort v70, v9, s[4:5]
	ds_read_b32 v9, v0
	s_mov_b32 s5, exec_lo
	s_waitcnt lgkmcnt(0)
	v_readfirstlane_b32 s15, v9
	v_cmpx_ge_u32_e64 v0, v34
	s_cbranch_execz .LBB2_19
; %bb.10:
	v_cmp_ge_u32_e64 s4, v0, v8
                                        ; implicit-def: $vgpr71
	s_and_saveexec_b32 s6, s4
	s_xor_b32 s4, exec_lo, s6
	s_cbranch_execz .LBB2_16
; %bb.11:
	v_cndmask_b32_e64 v9, 0, 1, vcc_lo
	s_mov_b32 s6, exec_lo
	v_sub_nc_u32_e32 v9, v1, v9
	v_cmpx_ge_u32_e64 v0, v9
	s_xor_b32 s6, exec_lo, s6
; %bb.12:
                                        ; implicit-def: $vgpr8
; %bb.13:
	s_or_saveexec_b32 s6, s6
	v_mov_b32_e32 v71, 16
	s_xor_b32 exec_lo, exec_lo, s6
; %bb.14:
	v_sub_nc_u32_e32 v8, v1, v8
	v_cmp_lt_i32_e32 vcc_lo, v0, v8
	v_cndmask_b32_e64 v71, 32, 0, vcc_lo
; %bb.15:
	s_or_b32 exec_lo, exec_lo, s6
.LBB2_16:
	s_andn2_saveexec_b32 s4, s4
; %bb.17:
	v_mov_b32_e32 v71, 8
; %bb.18:
	s_or_b32 exec_lo, exec_lo, s4
.LBB2_19:
	s_or_b32 exec_lo, exec_lo, s5
	v_and_b32_e32 v8, 36, v71
	v_cmp_ne_u32_e32 vcc_lo, 0, v8
	v_mov_b32_e32 v8, -1
	s_and_saveexec_b32 s4, vcc_lo
	s_cbranch_execz .LBB2_21
; %bb.20:
	s_trap 2
	ds_read_b32 v8, v0
.LBB2_21:
	s_or_b32 exec_lo, exec_lo, s4
	v_and_b32_e32 v9, 24, v71
	s_mov_b32 s5, exec_lo
	v_cmpx_ne_u32_e32 0, v9
	s_cbranch_execz .LBB2_23
; %bb.22:
	s_trap 2
	s_waitcnt lgkmcnt(0)
	ds_read_b32 v8, v0
.LBB2_23:
	s_or_b32 exec_lo, exec_lo, s5
	s_waitcnt vmcnt(1)
	v_lshrrev_b64 v[6:7], 31, v[6:7]
	v_mov_b32_e32 v18, 0
	v_mov_b32_e32 v19, 0
	s_waitcnt lgkmcnt(0)
	v_ashrrev_i32_e32 v9, 31, v8
                                        ; implicit-def: $vgpr80
                                        ; implicit-def: $vgpr38_vgpr39
                                        ; implicit-def: $vgpr22_vgpr23
                                        ; implicit-def: $vgpr26_vgpr27
                                        ; implicit-def: $vgpr20_vgpr21
	v_and_b32_e32 v16, 3, v6
	v_mov_b32_e32 v6, 0
	v_mov_b32_e32 v7, 0
	v_and_b32_e32 v32, 0xffff, v16
                                        ; implicit-def: $vgpr16_vgpr17
	s_and_saveexec_b32 s4, vcc_lo
	s_cbranch_execz .LBB2_33
; %bb.24:
	s_trap 2
	ds_read_b64 v[6:7], v0
	v_lshlrev_b64 v[16:17], 3, v[8:9]
	s_mov_b32 s5, exec_lo
	s_waitcnt lgkmcnt(0)
	v_add_co_u32 v6, vcc_lo, v6, v16
	v_add_co_ci_u32_e64 v7, null, v7, v17, vcc_lo
                                        ; implicit-def: $vgpr16_vgpr17
	flat_load_dwordx2 v[6:7], v[6:7]
	s_waitcnt vmcnt(0) lgkmcnt(0)
	v_mad_u64_u32 v[24:25], null, 0xa8, v32, v[6:7]
	flat_load_dword v6, v[24:25] offset:640
	s_waitcnt vmcnt(0) lgkmcnt(0)
	v_cmpx_eq_u32_e32 1, v6
	s_cbranch_execz .LBB2_26
; %bb.25:
	flat_load_dwordx2 v[16:17], v[24:25] offset:648
	v_or_b32_e32 v71, 0x2000, v71
	s_waitcnt vmcnt(0) lgkmcnt(0)
	flat_load_dwordx2 v[6:7], v[16:17]
	s_trap 2
	s_waitcnt vmcnt(0) lgkmcnt(0)
	ds_write_b64 v0, v[6:7]
	flat_load_dwordx2 v[6:7], v[16:17] offset:8
	s_waitcnt vmcnt(0) lgkmcnt(0)
	ds_write_b64 v0, v[6:7]
	flat_load_dwordx2 v[6:7], v[16:17] offset:16
	s_waitcnt vmcnt(0) lgkmcnt(0)
	ds_write_b64 v0, v[6:7]
.LBB2_26:
	s_or_b32 exec_lo, exec_lo, s5
	flat_load_dwordx2 v[6:7], v[24:25] offset:608
	v_and_b32_e32 v18, 32, v71
	s_mov_b32 s5, exec_lo
                                        ; implicit-def: $vgpr20_vgpr21
	s_waitcnt vmcnt(0) lgkmcnt(0)
	v_add_co_u32 v6, vcc_lo, v6, 3
	v_add_co_ci_u32_e64 v39, null, 0, v7, vcc_lo
	v_and_b32_e32 v38, -4, v6
	v_cmpx_ne_u32_e32 0, v18
	s_cbranch_execz .LBB2_28
; %bb.27:
	flat_load_dwordx2 v[20:21], v[24:25] offset:560
	s_waitcnt vmcnt(0) lgkmcnt(0)
	s_waitcnt_vscnt null, 0x0
	flat_store_dwordx2 v[20:21], v[38:39]
.LBB2_28:
	s_or_b32 exec_lo, exec_lo, s5
	v_and_b32_e32 v22, 4, v71
	v_add_co_u32 v18, vcc_lo, 0x1f8, v24
	v_mov_b32_e32 v6, 0
	v_add_co_ci_u32_e64 v19, null, 0, v25, vcc_lo
	v_mov_b32_e32 v7, 0
	v_cmp_ne_u32_e32 vcc_lo, 0, v22
                                        ; implicit-def: $vgpr80
                                        ; implicit-def: $vgpr22_vgpr23
                                        ; implicit-def: $vgpr26_vgpr27
	s_and_saveexec_b32 s5, vcc_lo
	s_cbranch_execz .LBB2_32
; %bb.29:
	v_and_b32_e32 v6, 0x800, v71
	s_mov_b32 s6, exec_lo
	v_cmpx_eq_u32_e32 0, v6
	s_cbranch_execz .LBB2_31
; %bb.30:
	s_trap 2
	ds_write_b64 v0, v[18:19]
.LBB2_31:
	s_or_b32 exec_lo, exec_lo, s6
	flat_load_dwordx2 v[20:21], v[24:25] offset:552
	s_waitcnt vmcnt(0) lgkmcnt(0)
	flat_load_dwordx2 v[26:27], v[20:21] glc dlc
	s_clause 0x2
	flat_load_dwordx2 v[6:7], v[24:25] offset:600
	flat_load_dword v80, v[24:25] offset:576
	flat_load_dwordx2 v[22:23], v[24:25] offset:520
	v_or_b32_e32 v24, 0x100, v71
	s_waitcnt vmcnt(2) lgkmcnt(2)
	v_cmp_eq_u64_e32 vcc_lo, 0, v[6:7]
	v_cndmask_b32_e32 v71, v24, v71, vcc_lo
.LBB2_32:
	s_or_b32 exec_lo, exec_lo, s5
.LBB2_33:
	s_or_b32 exec_lo, exec_lo, s4
	v_and_b32_e32 v24, 24, v71
	v_cmp_ne_u32_e32 vcc_lo, 0, v24
                                        ; implicit-def: $vgpr24_vgpr25
	s_and_saveexec_b32 s4, vcc_lo
	s_cbranch_execz .LBB2_41
; %bb.34:
	s_trap 2
	ds_read_b64 v[6:7], v0
	v_lshlrev_b64 v[8:9], 3, v[8:9]
	v_or_b32_e32 v24, 0x100, v71
	s_waitcnt lgkmcnt(0)
	v_add_co_u32 v6, vcc_lo, v6, v8
	v_add_co_ci_u32_e64 v7, null, v7, v9, vcc_lo
	flat_load_dwordx2 v[6:7], v[6:7]
	s_waitcnt vmcnt(0) lgkmcnt(0)
	v_mad_u64_u32 v[18:19], null, 0xa8, v32, v[6:7]
	flat_load_dwordx4 v[6:9], v[18:19] offset:96
	s_waitcnt vmcnt(0) lgkmcnt(0)
	v_cmp_eq_u64_e32 vcc_lo, 0, v[6:7]
	v_cndmask_b32_e32 v71, v24, v71, vcc_lo
	v_and_b32_e32 v24, 16, v71
	v_cmp_ne_u32_e32 vcc_lo, 0, v24
                                        ; implicit-def: $vgpr24_vgpr25
	s_and_saveexec_b32 s5, vcc_lo
	s_cbranch_execz .LBB2_36
; %bb.35:
	s_clause 0x2
	flat_load_dwordx2 v[20:21], v[18:19] offset:48
	flat_load_dwordx2 v[24:25], v[18:19] offset:120
	;; [unrolled: 1-line block ×3, first 2 shown]
.LBB2_36:
	s_or_b32 exec_lo, exec_lo, s5
	v_add_co_u32 v8, vcc_lo, v8, 3
	v_and_b32_e32 v32, 8, v71
	v_add_co_ci_u32_e64 v39, null, 0, v9, vcc_lo
	v_and_b32_e32 v38, -4, v8
	s_mov_b32 s5, exec_lo
	v_cmpx_ne_u32_e32 0, v32
	s_cbranch_execz .LBB2_40
; %bb.37:
	v_and_b32_e32 v8, 0x800, v71
	s_mov_b32 s6, exec_lo
	v_cmpx_eq_u32_e32 0, v8
	s_cbranch_execz .LBB2_39
; %bb.38:
	s_trap 2
	ds_write_b64 v0, v[18:19]
.LBB2_39:
	s_or_b32 exec_lo, exec_lo, s6
	s_waitcnt vmcnt(2) lgkmcnt(2)
	flat_load_dwordx2 v[20:21], v[18:19] offset:56
	s_waitcnt vmcnt(0) lgkmcnt(0)
	flat_load_dwordx2 v[26:27], v[20:21] glc dlc
	s_clause 0x1
	flat_load_dword v80, v[18:19] offset:72
	flat_load_dwordx2 v[22:23], v[18:19] offset:16
.LBB2_40:
	s_or_b32 exec_lo, exec_lo, s5
.LBB2_41:
	s_or_b32 exec_lo, exec_lo, s4
	v_cmp_eq_u32_e64 s4, 0, v0
	s_and_saveexec_b32 s5, s4
	s_cbranch_execz .LBB2_43
; %bb.42:
	flat_load_dwordx2 v[8:9], v[2:3] offset:32
	ds_write2_b64 v0, v[12:13], v[10:11] offset1:1
	s_trap 2
	s_waitcnt vmcnt(0) lgkmcnt(1)
	ds_write_b64 v0, v[8:9]
	ds_write_b64 v0, v[29:30]
.LBB2_43:
	s_or_b32 exec_lo, exec_lo, s5
	v_mov_b32_e32 v12, 0
	v_mov_b32_e32 v13, 0
	s_mov_b32 s26, exec_lo
	v_cmpx_lt_i64_e32 0, v[4:5]
	s_cbranch_execz .LBB2_1210
; %bb.44:
	flat_load_dword v3, v[2:3] offset:4
	v_lshrrev_b32_e32 v81, 5, v1
	s_ashr_i32 s28, s25, 31
	s_add_u32 s40, s25, -1
	v_and_b32_e32 v84, 0x1fe0, v1
	s_addc_u32 s41, s28, -1
	s_add_i32 s42, s25, s25
	s_not_b32 s11, s25
	s_cmp_gt_i32 s25, 0
	v_lshlrev_b32_e32 v98, 9, v81
	s_cselect_b32 s16, s11, -1
	s_ashr_i32 s17, s15, 31
	v_subrev_nc_u32_e32 v100, 32, v84
	s_add_i32 s43, s16, s42
	s_lshr_b32 s16, s17, 25
	v_add_nc_u32_e32 v101, 0xfffffe00, v98
	s_add_i32 s15, s15, s16
	v_and_b32_e32 v8, 31, v31
	v_and_b32_e32 v82, 31, v0
	s_ashr_i32 s45, s15, 7
	v_and_b32_e32 v36, 0x3ffffe00, v28
	s_ashr_i32 s44, s43, 31
	v_ashrrev_i32_e32 v102, 31, v100
	s_cmp_gt_i32 s25, 2
	v_ashrrev_i32_e32 v103, 31, v101
	v_mov_b32_e32 v2, 0
	v_lshrrev_b32_e32 v83, 5, v0
	v_cmp_eq_u32_e64 s11, 0, v8
	v_lshlrev_b32_e32 v8, 4, v82
	s_cselect_b32 s46, -1, 0
	s_add_i32 s17, s25, 1
	v_add_co_u32 v112, s16, v100, 32
	v_mad_i64_i32 v[32:33], null, v36, s25, 0
	v_add_co_ci_u32_e64 v113, null, 0, v102, s16
	v_add_co_u32 v114, s16, 0x200, v101
	v_cmp_ge_u32_e32 vcc_lo, v0, v1
	v_mov_b32_e32 v28, 0
	s_waitcnt vmcnt(2) lgkmcnt(2)
	v_cmp_eq_u64_e64 s7, 0, v[24:25]
	v_cmp_ne_u64_e64 s10, 0, v[24:25]
	v_mov_b32_e32 v12, 0
	v_add_co_ci_u32_e64 v115, null, 0, v103, s16
	v_ashrrev_i32_e32 v30, 31, v80
	v_cmp_eq_u32_e64 s5, 32, v1
	v_cmp_ne_u32_e64 s6, 32, v1
	s_waitcnt vmcnt(1)
	v_cmp_ne_u32_sdwa s29, v1, v70 src0_sel:DWORD src1_sel:WORD_0
	v_mov_b32_e32 v29, 0
	v_lshlrev_b32_e32 v85, 4, v0
	v_mov_b32_e32 v86, 1
	v_mov_b32_e32 v87, 0x90
	;; [unrolled: 1-line block ×5, first 2 shown]
	v_cmp_eq_u32_e64 s12, 0, v82
	v_cmp_lt_u32_e64 s13, v82, v34
	v_lshlrev_b32_e32 v97, 10, v81
	v_lshlrev_b32_e32 v99, 8, v81
	v_cmp_le_u32_e64 s14, v82, v34
	v_mov_b32_e32 v35, v2
	v_lshl_or_b32 v34, v83, 10, v8
	s_mov_b32 s27, 0
	s_trap 2
	s_waitcnt vmcnt(0) lgkmcnt(0)
	v_and_b32_e32 v3, 1, v3
	v_cmp_eq_u32_e64 s15, 1, v3
	s_xor_b32 s47, s15, -1
	s_cmp_ge_i32 s17, s25
	s_cselect_b32 s16, s25, 0
	s_add_i32 s56, s25, -2
	s_sub_i32 s58, s17, s16
	s_xor_b32 s57, vcc_lo, -1
	s_ashr_i32 s20, s28, 31
	s_ashr_i32 s59, s58, 31
	s_sub_i32 s60, 0, s25
	s_branch .LBB2_47
.LBB2_45:                               ;   in Loop: Header=BB2_47 Depth=1
	s_or_b32 exec_lo, exec_lo, s18
.LBB2_46:                               ;   in Loop: Header=BB2_47 Depth=1
	s_or_b32 exec_lo, exec_lo, s17
	v_add_co_u32 v28, vcc_lo, v28, v32
	v_add_co_ci_u32_e64 v29, null, v29, v33, vcc_lo
	v_cmp_ge_i64_e32 vcc_lo, v[28:29], v[4:5]
	s_or_b32 s27, vcc_lo, s27
	s_andn2_b32 exec_lo, exec_lo, s27
	s_cbranch_execz .LBB2_1209
.LBB2_47:                               ; =>This Loop Header: Depth=1
                                        ;     Child Loop BB2_57 Depth 2
                                        ;       Child Loop BB2_65 Depth 3
                                        ;       Child Loop BB2_89 Depth 3
	;; [unrolled: 1-line block ×9, first 2 shown]
                                        ;     Child Loop BB2_197 Depth 2
                                        ;       Child Loop BB2_203 Depth 3
                                        ;       Child Loop BB2_227 Depth 3
	;; [unrolled: 1-line block ×3, first 2 shown]
                                        ;     Child Loop BB2_269 Depth 2
                                        ;       Child Loop BB2_272 Depth 3
                                        ;         Child Loop BB2_280 Depth 4
                                        ;         Child Loop BB2_308 Depth 4
	;; [unrolled: 1-line block ×9, first 2 shown]
                                        ;       Child Loop BB2_416 Depth 3
                                        ;         Child Loop BB2_422 Depth 4
                                        ;         Child Loop BB2_450 Depth 4
	;; [unrolled: 1-line block ×3, first 2 shown]
                                        ;     Child Loop BB2_491 Depth 2
                                        ;       Child Loop BB2_499 Depth 3
                                        ;       Child Loop BB2_527 Depth 3
	;; [unrolled: 1-line block ×4, first 2 shown]
                                        ;         Child Loop BB2_570 Depth 4
                                        ;       Child Loop BB2_576 Depth 3
                                        ;         Child Loop BB2_577 Depth 4
                                        ;       Child Loop BB2_584 Depth 3
                                        ;       Child Loop BB2_589 Depth 3
                                        ;         Child Loop BB2_590 Depth 4
                                        ;       Child Loop BB2_602 Depth 3
                                        ;       Child Loop BB2_607 Depth 3
	;; [unrolled: 1-line block ×6, first 2 shown]
                                        ;     Child Loop BB2_670 Depth 2
                                        ;       Child Loop BB2_676 Depth 3
                                        ;       Child Loop BB2_704 Depth 3
	;; [unrolled: 1-line block ×3, first 2 shown]
                                        ;     Child Loop BB2_745 Depth 2
                                        ;       Child Loop BB2_748 Depth 3
                                        ;         Child Loop BB2_756 Depth 4
                                        ;         Child Loop BB2_784 Depth 4
	;; [unrolled: 1-line block ×4, first 2 shown]
                                        ;           Child Loop BB2_827 Depth 5
                                        ;         Child Loop BB2_833 Depth 4
                                        ;           Child Loop BB2_834 Depth 5
                                        ;         Child Loop BB2_841 Depth 4
                                        ;         Child Loop BB2_846 Depth 4
                                        ;           Child Loop BB2_847 Depth 5
                                        ;         Child Loop BB2_859 Depth 4
                                        ;         Child Loop BB2_864 Depth 4
	;; [unrolled: 1-line block ×6, first 2 shown]
                                        ;       Child Loop BB2_927 Depth 3
                                        ;         Child Loop BB2_933 Depth 4
                                        ;         Child Loop BB2_961 Depth 4
	;; [unrolled: 1-line block ×3, first 2 shown]
                                        ;     Child Loop BB2_1005 Depth 2
                                        ;       Child Loop BB2_1013 Depth 3
                                        ;       Child Loop BB2_1037 Depth 3
	;; [unrolled: 1-line block ×9, first 2 shown]
                                        ;     Child Loop BB2_1143 Depth 2
                                        ;       Child Loop BB2_1149 Depth 3
                                        ;       Child Loop BB2_1173 Depth 3
	;; [unrolled: 1-line block ×3, first 2 shown]
	v_sub_co_u32 v48, vcc_lo, v4, v28
	v_sub_co_ci_u32_e64 v49, null, v5, v29, vcc_lo
	s_mov_b32 s17, exec_lo
	v_cmpx_lt_i64_e64 v[48:49], v[32:33]
	s_cbranch_execz .LBB2_53
; %bb.48:                               ;   in Loop: Header=BB2_47 Depth=1
	v_add_co_u32 v10, vcc_lo, s40, v48
	v_add_co_ci_u32_e64 v11, null, s41, v49, vcc_lo
                                        ; implicit-def: $vgpr8_vgpr9
	s_mov_b32 s16, exec_lo
	v_or_b32_e32 v3, s28, v11
	v_cmpx_ne_u64_e32 0, v[2:3]
	s_xor_b32 s22, exec_lo, s16
	s_cbranch_execz .LBB2_50
; %bb.49:                               ;   in Loop: Header=BB2_47 Depth=1
	s_add_u32 s18, s25, s20
	s_mov_b32 s21, s20
	s_addc_u32 s19, s28, s20
	v_ashrrev_i32_e32 v50, 31, v11
	s_xor_b64 s[18:19], s[18:19], s[20:21]
	v_cvt_f32_u32_e32 v3, s18
	v_cvt_f32_u32_e32 v8, s19
	s_sub_u32 s16, 0, s18
	s_subb_u32 s61, 0, s19
	v_add_co_u32 v9, vcc_lo, v10, v50
	v_fmac_f32_e32 v3, 0x4f800000, v8
	v_xor_b32_e32 v51, v9, v50
	v_rcp_f32_e32 v3, v3
	v_mul_f32_e32 v3, 0x5f7ffffc, v3
	v_mul_f32_e32 v8, 0x2f800000, v3
	v_trunc_f32_e32 v8, v8
	v_fmac_f32_e32 v3, 0xcf800000, v8
	v_cvt_u32_f32_e32 v8, v8
	v_cvt_u32_f32_e32 v3, v3
	v_readfirstlane_b32 s21, v8
	v_readfirstlane_b32 s23, v3
	s_mul_i32 s62, s16, s21
	v_add_co_ci_u32_e64 v3, null, v11, v50, vcc_lo
	s_mul_hi_u32 s72, s16, s23
	s_mul_i32 s63, s61, s23
	s_add_i32 s62, s72, s62
	s_mul_i32 s73, s16, s23
	s_add_i32 s62, s62, s63
	s_mul_hi_u32 s72, s23, s73
	s_mul_i32 s75, s23, s62
	s_mul_hi_u32 s74, s21, s73
	s_mul_i32 s63, s21, s73
	s_mul_hi_u32 s73, s23, s62
	s_add_u32 s72, s72, s75
	s_addc_u32 s73, 0, s73
	s_mul_hi_u32 s76, s21, s62
	s_add_u32 s63, s72, s63
	s_mul_i32 s62, s21, s62
	s_addc_u32 s63, s73, s74
	s_addc_u32 s72, s76, 0
	s_add_u32 s62, s63, s62
	s_addc_u32 s63, 0, s72
	s_add_u32 s23, s23, s62
	s_cselect_b32 s62, -1, 0
	s_mul_hi_u32 s72, s16, s23
	s_cmp_lg_u32 s62, 0
	s_mul_i32 s62, s16, s23
	s_addc_u32 s21, s21, s63
	s_mul_i32 s61, s61, s23
	s_mul_i32 s16, s16, s21
	s_mul_hi_u32 s63, s23, s62
	s_add_i32 s16, s72, s16
	s_mul_hi_u32 s72, s21, s62
	s_add_i32 s16, s16, s61
	s_mul_i32 s61, s21, s62
	s_mul_i32 s74, s23, s16
	s_mul_hi_u32 s73, s23, s16
	s_add_u32 s63, s63, s74
	s_addc_u32 s73, 0, s73
	s_mul_hi_u32 s62, s21, s16
	s_add_u32 s61, s63, s61
	s_mul_i32 s16, s21, s16
	s_addc_u32 s61, s73, s72
	s_addc_u32 s62, s62, 0
	s_add_u32 s16, s61, s16
	s_addc_u32 s61, 0, s62
	s_add_u32 s16, s23, s16
	s_cselect_b32 s23, -1, 0
	v_xor_b32_e32 v3, v3, v50
	s_cmp_lg_u32 s23, 0
	v_mul_hi_u32 v52, v51, s16
	s_addc_u32 s21, s21, s61
	v_mad_u64_u32 v[8:9], null, v51, s21, 0
	v_mad_u64_u32 v[10:11], null, v3, s16, 0
	;; [unrolled: 1-line block ×3, first 2 shown]
	v_add_co_u32 v8, vcc_lo, v52, v8
	v_add_co_ci_u32_e64 v9, null, 0, v9, vcc_lo
	v_add_co_u32 v8, vcc_lo, v8, v10
	v_add_co_ci_u32_e32 v8, vcc_lo, v9, v11, vcc_lo
	v_add_co_ci_u32_e32 v9, vcc_lo, 0, v37, vcc_lo
	v_add_co_u32 v10, vcc_lo, v8, v36
	v_add_co_ci_u32_e64 v11, null, 0, v9, vcc_lo
	v_mul_lo_u32 v36, s19, v10
	v_mad_u64_u32 v[8:9], null, s18, v10, 0
	v_mul_lo_u32 v37, s18, v11
	v_sub_co_u32 v8, vcc_lo, v51, v8
	v_add3_u32 v9, v9, v37, v36
	v_add_co_u32 v37, s16, v10, 2
	v_add_co_ci_u32_e64 v51, null, 0, v11, s16
	v_sub_nc_u32_e32 v36, v3, v9
	v_sub_co_u32 v52, s16, v8, s18
	v_sub_co_ci_u32_e64 v3, null, v3, v9, vcc_lo
	v_subrev_co_ci_u32_e64 v36, null, s19, v36, vcc_lo
	v_cmp_le_u32_e32 vcc_lo, s18, v52
	v_subrev_co_ci_u32_e64 v36, null, 0, v36, s16
	v_cndmask_b32_e64 v9, 0, -1, vcc_lo
	v_cmp_le_u32_e32 vcc_lo, s19, v36
	v_cndmask_b32_e64 v52, 0, -1, vcc_lo
	v_cmp_le_u32_e32 vcc_lo, s18, v8
	;; [unrolled: 2-line block ×3, first 2 shown]
	v_cndmask_b32_e64 v53, 0, -1, vcc_lo
	v_cmp_eq_u32_e32 vcc_lo, s19, v36
	v_cndmask_b32_e32 v9, v52, v9, vcc_lo
	v_add_co_u32 v36, vcc_lo, v10, 1
	v_add_co_ci_u32_e64 v52, null, 0, v11, vcc_lo
	v_cmp_eq_u32_e32 vcc_lo, s19, v3
	v_cndmask_b32_e32 v3, v53, v8, vcc_lo
	v_cmp_ne_u32_e32 vcc_lo, 0, v9
	v_xor_b32_e32 v9, s20, v50
	v_cmp_ne_u32_e64 s16, 0, v3
	v_cndmask_b32_e32 v3, v36, v37, vcc_lo
	v_cndmask_b32_e32 v8, v52, v51, vcc_lo
	v_cndmask_b32_e64 v3, v10, v3, s16
	v_cndmask_b32_e64 v8, v11, v8, s16
	v_xor_b32_e32 v3, v3, v9
	v_xor_b32_e32 v10, v8, v9
	v_sub_co_u32 v8, vcc_lo, v3, v9
	v_sub_co_ci_u32_e64 v9, null, v10, v9, vcc_lo
                                        ; implicit-def: $vgpr10
.LBB2_50:                               ;   in Loop: Header=BB2_47 Depth=1
	s_andn2_saveexec_b32 s16, s22
	s_cbranch_execz .LBB2_52
; %bb.51:                               ;   in Loop: Header=BB2_47 Depth=1
	v_cvt_f32_u32_e32 v3, s25
	v_rcp_iflag_f32_e32 v3, v3
	v_mul_f32_e32 v3, 0x4f7ffffe, v3
	v_cvt_u32_f32_e32 v3, v3
	v_mul_lo_u32 v8, s60, v3
	v_mul_hi_u32 v8, v3, v8
	v_add_nc_u32_e32 v3, v3, v8
	v_mul_hi_u32 v3, v10, v3
	v_mul_lo_u32 v8, v3, s25
	v_add_nc_u32_e32 v9, 1, v3
	v_sub_nc_u32_e32 v8, v10, v8
	v_subrev_nc_u32_e32 v10, s25, v8
	v_cmp_le_u32_e32 vcc_lo, s25, v8
	v_cndmask_b32_e32 v8, v8, v10, vcc_lo
	v_cndmask_b32_e32 v3, v3, v9, vcc_lo
	v_cmp_le_u32_e32 vcc_lo, s25, v8
	v_add_nc_u32_e32 v9, 1, v3
	v_cndmask_b32_e32 v8, v3, v9, vcc_lo
	v_mov_b32_e32 v9, v2
.LBB2_52:                               ;   in Loop: Header=BB2_47 Depth=1
	s_or_b32 exec_lo, exec_lo, s16
	v_add_co_u32 v3, vcc_lo, v8, 15
	v_add_co_ci_u32_e64 v37, null, 0, v9, vcc_lo
	v_and_b32_e32 v36, -16, v3
.LBB2_53:                               ;   in Loop: Header=BB2_47 Depth=1
	s_or_b32 exec_lo, exec_lo, s17
	v_mul_lo_u32 v3, v37, s43
	v_mul_lo_u32 v8, v36, s44
	v_mad_u64_u32 v[10:11], null, v36, s43, 0
	v_mov_b32_e32 v65, 0
	v_add3_u32 v11, v11, v8, v3
	v_sub_co_u32 v8, vcc_lo, v48, v10
	v_sub_co_ci_u32_e64 v9, null, v49, v11, vcc_lo
	v_cmp_lt_i64_e32 vcc_lo, v[36:37], v[8:9]
	v_cndmask_b32_e32 v8, v8, v36, vcc_lo
	v_add_co_u32 v116, vcc_lo, v28, v14
	v_add_co_ci_u32_e64 v117, null, v29, v15, vcc_lo
	v_max_i32_e32 v64, 0, v8
	v_cmp_lt_i32_e32 vcc_lo, 0, v8
	v_add_nc_u32_e32 v3, 31, v64
	s_and_b32 s16, s57, vcc_lo
	v_lshrrev_b32_e32 v3, 1, v3
	v_and_b32_e32 v9, 0x3ffffff0, v3
	v_mov_b32_e32 v3, 0
	v_max_i32_e32 v8, s45, v9
	s_and_saveexec_b32 s18, s16
	s_cbranch_execz .LBB2_193
; %bb.54:                               ;   in Loop: Header=BB2_47 Depth=1
	v_mov_b32_e32 v65, 0
	s_mov_b32 s22, 1
	s_mov_b32 s21, -1
	s_mov_b32 s19, 0
	s_branch .LBB2_57
.LBB2_55:                               ;   in Loop: Header=BB2_57 Depth=2
	s_or_b32 exec_lo, exec_lo, s17
	v_add_co_u32 v38, vcc_lo, v38, 2
	v_add_co_ci_u32_e64 v39, null, 0, v39, vcc_lo
	s_waitcnt vmcnt(0) lgkmcnt(0)
	s_waitcnt_vscnt null, 0x0
	flat_store_dwordx2 v[20:21], v[38:39]
.LBB2_56:                               ;   in Loop: Header=BB2_57 Depth=2
	s_or_b32 exec_lo, exec_lo, s16
	v_add_nc_u32_e32 v65, v8, v65
	s_xor_b32 s16, s21, -1
	v_mov_b32_e32 v3, s22
	s_mov_b32 s21, 0
	s_mov_b32 s22, 2
	v_cmp_ge_i32_e32 vcc_lo, v65, v64
	s_or_b32 s16, s16, vcc_lo
	s_and_b32 s16, exec_lo, s16
	s_or_b32 s19, s16, s19
	s_andn2_b32 exec_lo, exec_lo, s19
	s_cbranch_execz .LBB2_192
.LBB2_57:                               ;   Parent Loop BB2_47 Depth=1
                                        ; =>  This Loop Header: Depth=2
                                        ;       Child Loop BB2_65 Depth 3
                                        ;       Child Loop BB2_89 Depth 3
	;; [unrolled: 1-line block ×9, first 2 shown]
	s_and_saveexec_b32 s16, s4
	s_cbranch_execz .LBB2_59
; %bb.58:                               ;   in Loop: Header=BB2_57 Depth=2
	s_trap 2
	ds_read_b64 v[50:51], v0
	s_waitcnt lgkmcnt(0)
	v_add_co_u32 v3, vcc_lo, v50, v116
	v_add_co_ci_u32_e64 v9, null, v51, v117, vcc_lo
	v_ashrrev_i32_e32 v51, 31, v65
	v_add_co_u32 v3, vcc_lo, v3, v10
	v_add_co_ci_u32_e64 v9, null, v9, v11, vcc_lo
	v_add_co_u32 v50, vcc_lo, v3, v65
	v_add_co_ci_u32_e64 v51, null, v9, v51, vcc_lo
	v_mov_b32_e32 v3, v2
	ds_write_b64 v0, v[50:51]
	ds_write_b64 v0, v[2:3]
.LBB2_59:                               ;   in Loop: Header=BB2_57 Depth=2
	s_or_b32 exec_lo, exec_lo, s16
	v_sub_nc_u32_e32 v3, v64, v65
	v_and_b32_e32 v9, 8, v71
	s_mov_b32 s17, exec_lo
	v_min_i32_e32 v8, v8, v3
	v_cmpx_ne_u32_e32 0, v9
	s_cbranch_execz .LBB2_81
; %bb.60:                               ;   in Loop: Header=BB2_57 Depth=2
	s_waitcnt vmcnt(0) lgkmcnt(1)
	v_add_co_u32 v52, vcc_lo, v26, 8
	v_add_co_ci_u32_e64 v53, null, 0, v27, vcc_lo
	v_add_co_u32 v50, vcc_lo, v38, 2
	v_add_co_ci_u32_e64 v51, null, 0, v39, vcc_lo
	s_mov_b32 s23, exec_lo
	v_cmpx_lt_u64_e64 v[52:53], v[50:51]
	s_cbranch_execz .LBB2_72
; %bb.61:                               ;   in Loop: Header=BB2_57 Depth=2
	v_and_b32_e32 v3, 64, v71
	s_mov_b32 s61, 0
	s_mov_b32 s73, 0
                                        ; implicit-def: $sgpr62
                                        ; implicit-def: $sgpr63
                                        ; implicit-def: $sgpr72
	v_cmp_eq_u32_e32 vcc_lo, 0, v3
	s_branch .LBB2_65
.LBB2_62:                               ;   in Loop: Header=BB2_65 Depth=3
	s_waitcnt vmcnt(0) lgkmcnt(0)
	v_add_co_u32 v52, s16, v26, 8
	v_add_co_ci_u32_e64 v53, null, 0, v27, s16
	s_or_b32 s76, s76, exec_lo
	v_cmp_ge_u64_e64 s16, v[52:53], v[50:51]
	s_orn2_b32 s75, s16, exec_lo
.LBB2_63:                               ;   in Loop: Header=BB2_65 Depth=3
	s_or_b32 exec_lo, exec_lo, s78
	s_andn2_b32 s16, s72, exec_lo
	s_and_b32 s72, s76, exec_lo
	s_andn2_b32 s63, s63, exec_lo
	s_and_b32 s75, s75, exec_lo
	s_or_b32 s72, s16, s72
	s_or_b32 s63, s63, s75
.LBB2_64:                               ;   in Loop: Header=BB2_65 Depth=3
	s_or_b32 exec_lo, exec_lo, s74
	s_and_b32 s16, exec_lo, s63
	s_or_b32 s61, s16, s61
	s_andn2_b32 s16, s62, exec_lo
	s_and_b32 s62, s72, exec_lo
	s_or_b32 s62, s16, s62
	s_andn2_b32 exec_lo, exec_lo, s61
	s_cbranch_execz .LBB2_69
.LBB2_65:                               ;   Parent Loop BB2_47 Depth=1
                                        ;     Parent Loop BB2_57 Depth=2
                                        ; =>    This Inner Loop Header: Depth=3
	s_sleep 1
	s_waitcnt vmcnt(0) lgkmcnt(0)
	flat_load_dwordx2 v[26:27], v[20:21] glc dlc
	s_or_b32 s72, s72, exec_lo
	s_or_b32 s63, s63, exec_lo
                                        ; implicit-def: $vgpr3
	s_and_saveexec_b32 s74, vcc_lo
	s_cbranch_execz .LBB2_64
; %bb.66:                               ;   in Loop: Header=BB2_65 Depth=3
	s_cmpk_lt_i32 s73, 0x270f
	s_mov_b32 s75, -1
	s_cselect_b32 s77, -1, 0
	s_cmpk_gt_i32 s73, 0x270e
	s_cbranch_scc0 .LBB2_68
; %bb.67:                               ;   in Loop: Header=BB2_65 Depth=3
	s_trap 2
	ds_read_b64 v[52:53], v0
	s_andn2_b32 s73, s77, exec_lo
	s_mov_b32 s76, 0
	s_waitcnt vmcnt(0) lgkmcnt(0)
	s_waitcnt_vscnt null, 0x0
	flat_load_dword v3, v[52:53] glc dlc
	s_waitcnt vmcnt(0) lgkmcnt(0)
	buffer_gl1_inv
	buffer_gl0_inv
	v_cmp_eq_u32_e64 s16, 0, v3
	s_and_b32 s16, s16, exec_lo
	s_or_b32 s77, s73, s16
	s_mov_b32 s73, 0
	s_and_saveexec_b32 s78, s77
	s_cbranch_execz .LBB2_63
	s_branch .LBB2_62
.LBB2_68:                               ;   in Loop: Header=BB2_65 Depth=3
	s_add_i32 s73, s73, 1
	s_mov_b32 s76, -1
                                        ; implicit-def: $vgpr3
	s_and_saveexec_b32 s78, s77
	s_cbranch_execz .LBB2_63
	s_branch .LBB2_62
.LBB2_69:                               ;   in Loop: Header=BB2_57 Depth=2
	s_or_b32 exec_lo, exec_lo, s61
	s_xor_b32 s16, s62, -1
	s_and_saveexec_b32 s61, s16
	s_xor_b32 s16, exec_lo, s61
	s_cbranch_execz .LBB2_71
; %bb.70:                               ;   in Loop: Header=BB2_57 Depth=2
	v_or_b32_e32 v71, 64, v71
	s_waitcnt vmcnt(0) lgkmcnt(0)
	s_waitcnt_vscnt null, 0x0
	ds_write_b32 v0, v3
	s_trap 2
.LBB2_71:                               ;   in Loop: Header=BB2_57 Depth=2
	s_or_b32 exec_lo, exec_lo, s16
.LBB2_72:                               ;   in Loop: Header=BB2_57 Depth=2
	s_or_b32 exec_lo, exec_lo, s23
	v_and_b32_e32 v3, 0x100, v71
	s_mov_b32 s16, -1
	;;#ASMSTART
	s_wakeup
	;;#ASMEND
	v_cmp_ne_u32_e32 vcc_lo, 0, v3
	v_and_b32_e32 v3, 7, v38
                                        ; implicit-def: $vgpr38_vgpr39
	s_and_saveexec_b32 s23, vcc_lo
	s_cbranch_execz .LBB2_76
; %bb.73:                               ;   in Loop: Header=BB2_57 Depth=2
	v_mad_u64_u32 v[52:53], null, v3, 24, v[6:7]
	v_ashrrev_i32_e32 v9, 31, v8
	flat_load_dword v38, v[52:53]
	flat_store_dwordx2 v[52:53], v[8:9] offset:8
	s_waitcnt vmcnt(0) lgkmcnt(1)
	v_cmp_eq_u32_e64 s16, 1, v38
	v_cmp_ne_u32_e32 vcc_lo, 1, v38
                                        ; implicit-def: $vgpr38_vgpr39
	s_and_saveexec_b32 s61, s16
	s_cbranch_execz .LBB2_75
; %bb.74:                               ;   in Loop: Header=BB2_57 Depth=2
	flat_load_dword v38, v[52:53] offset:4 glc dlc
	s_waitcnt vmcnt(0) lgkmcnt(0)
	v_ashrrev_i32_e32 v39, 31, v38
.LBB2_75:                               ;   in Loop: Header=BB2_57 Depth=2
	s_or_b32 exec_lo, exec_lo, s61
	s_orn2_b32 s16, vcc_lo, exec_lo
.LBB2_76:                               ;   in Loop: Header=BB2_57 Depth=2
	s_or_b32 exec_lo, exec_lo, s23
	s_and_saveexec_b32 s23, s16
; %bb.77:                               ;   in Loop: Header=BB2_57 Depth=2
	v_mad_i64_i32 v[38:39], null, v3, v80, 0
; %bb.78:                               ;   in Loop: Header=BB2_57 Depth=2
	s_or_b32 exec_lo, exec_lo, s23
	v_add_co_u32 v38, vcc_lo, v22, v38
	v_and_b32_e32 v3, 0x2000, v71
	v_add_co_ci_u32_e64 v39, null, v23, v39, vcc_lo
	s_mov_b32 s16, exec_lo
	ds_write_b64 v0, v[38:39] offset:784
	v_cmpx_ne_u32_e32 0, v3
	s_cbranch_execz .LBB2_80
; %bb.79:                               ;   in Loop: Header=BB2_57 Depth=2
	ds_read_b64 v[38:39], v0 offset:872
	s_waitcnt lgkmcnt(0)
	v_add_co_u32 v38, vcc_lo, v38, 1
	v_add_co_ci_u32_e64 v39, null, 0, v39, vcc_lo
	ds_write_b64 v0, v[38:39] offset:872
.LBB2_80:                               ;   in Loop: Header=BB2_57 Depth=2
	s_or_b32 exec_lo, exec_lo, s16
	v_mov_b32_e32 v38, v50
	v_mov_b32_e32 v39, v51
.LBB2_81:                               ;   in Loop: Header=BB2_57 Depth=2
	s_or_b32 exec_lo, exec_lo, s17
	s_and_saveexec_b32 s16, s6
	s_cbranch_execz .LBB2_100
; %bb.82:                               ;   in Loop: Header=BB2_57 Depth=2
	s_and_saveexec_b32 s17, s29
	s_xor_b32 s17, exec_lo, s17
	s_cbranch_execz .LBB2_97
; %bb.83:                               ;   in Loop: Header=BB2_57 Depth=2
	s_and_saveexec_b32 s23, s11
	s_cbranch_execz .LBB2_96
; %bb.84:                               ;   in Loop: Header=BB2_57 Depth=2
	s_mov_b32 s62, exec_lo
	s_mov_b32 s61, exec_lo
	v_mbcnt_lo_u32_b32 v3, s62, 0
	s_waitcnt vmcnt(0) lgkmcnt(0)
	s_waitcnt_vscnt null, 0x0
	buffer_gl1_inv
	buffer_gl0_inv
	v_cmpx_eq_u32_e32 0, v3
	s_cbranch_execz .LBB2_86
; %bb.85:                               ;   in Loop: Header=BB2_57 Depth=2
	s_bcnt1_i32_b32 s62, s62
	v_mov_b32_e32 v51, v2
	v_mov_b32_e32 v50, s62
	ds_add_u64 v0, v[50:51]
	s_trap 2
.LBB2_86:                               ;   in Loop: Header=BB2_57 Depth=2
	s_or_b32 exec_lo, exec_lo, s61
	s_trap 2
	ds_read_b64 v[50:51], v0
	s_waitcnt lgkmcnt(0)
	buffer_gl0_inv
	v_add_co_u32 v12, vcc_lo, v12, v81
	v_add_co_ci_u32_e64 v13, null, 0, v13, vcc_lo
	s_mov_b32 s61, exec_lo
	v_cmpx_lt_u64_e64 v[50:51], v[12:13]
	s_cbranch_execz .LBB2_95
; %bb.87:                               ;   in Loop: Header=BB2_57 Depth=2
	s_mov_b32 s62, 0
	s_mov_b32 s73, 0
                                        ; implicit-def: $sgpr63
                                        ; implicit-def: $sgpr72
	s_inst_prefetch 0x1
	s_branch .LBB2_89
	.p2align	6
.LBB2_88:                               ;   in Loop: Header=BB2_89 Depth=3
	s_or_b32 exec_lo, exec_lo, s75
	s_and_b32 s74, exec_lo, s76
	s_or_b32 s62, s74, s62
	s_andn2_b32 s63, s63, exec_lo
	s_and_b32 s74, s72, exec_lo
	s_or_b32 s63, s63, s74
	s_andn2_b32 exec_lo, exec_lo, s62
	s_cbranch_execz .LBB2_93
.LBB2_89:                               ;   Parent Loop BB2_47 Depth=1
                                        ;     Parent Loop BB2_57 Depth=2
                                        ; =>    This Inner Loop Header: Depth=3
	s_add_i32 s73, s73, 1
	s_cmpk_lg_i32 s73, 0x2710
	s_cselect_b32 s74, -1, 0
	s_and_b32 vcc_lo, exec_lo, s74
	s_cbranch_vccz .LBB2_91
; %bb.90:                               ;   in Loop: Header=BB2_89 Depth=3
	s_mov_b32 s76, -1
	s_or_b32 s72, s72, exec_lo
	s_and_saveexec_b32 s75, s74
	s_cbranch_execz .LBB2_88
	s_branch .LBB2_92
	.p2align	6
.LBB2_91:                               ;   in Loop: Header=BB2_89 Depth=3
	s_trap 2
	ds_read_b64 v[50:51], v0
	s_andn2_b32 s74, s74, exec_lo
	s_mov_b32 s73, 0
	s_waitcnt lgkmcnt(0)
	flat_load_dword v3, v[50:51] glc dlc
	s_waitcnt vmcnt(0) lgkmcnt(0)
	buffer_gl1_inv
	buffer_gl0_inv
	v_cmp_eq_u32_e32 vcc_lo, 0, v3
	s_and_b32 s75, vcc_lo, exec_lo
	s_or_b32 s74, s74, s75
	s_mov_b32 s76, -1
	s_or_b32 s72, s72, exec_lo
	s_and_saveexec_b32 s75, s74
	s_cbranch_execz .LBB2_88
.LBB2_92:                               ;   in Loop: Header=BB2_89 Depth=3
	s_sleep 1
	s_trap 2
	ds_read_b64 v[50:51], v0
	s_waitcnt lgkmcnt(0)
	buffer_gl0_inv
	s_andn2_b32 s72, s72, exec_lo
	v_cmp_ge_u64_e32 vcc_lo, v[50:51], v[12:13]
	s_orn2_b32 s76, vcc_lo, exec_lo
	s_branch .LBB2_88
.LBB2_93:                               ;   in Loop: Header=BB2_57 Depth=2
	s_inst_prefetch 0x2
	s_or_b32 exec_lo, exec_lo, s62
	s_and_saveexec_b32 s62, s63
	s_xor_b32 s62, exec_lo, s62
	s_cbranch_execz .LBB2_95
; %bb.94:                               ;   in Loop: Header=BB2_57 Depth=2
	ds_write_b32 v0, v86
	s_trap 2
.LBB2_95:                               ;   in Loop: Header=BB2_57 Depth=2
	s_or_b32 exec_lo, exec_lo, s61
	;;#ASMSTART
	s_wakeup
	;;#ASMEND
.LBB2_96:                               ;   in Loop: Header=BB2_57 Depth=2
	s_or_b32 exec_lo, exec_lo, s23
.LBB2_97:                               ;   in Loop: Header=BB2_57 Depth=2
	s_andn2_saveexec_b32 s17, s17
	s_cbranch_execz .LBB2_99
; %bb.98:                               ;   in Loop: Header=BB2_57 Depth=2
	s_waitcnt vmcnt(0) lgkmcnt(0)
	s_waitcnt_vscnt null, 0x0
	buffer_gl1_inv
	buffer_gl0_inv
	s_barrier
.LBB2_99:                               ;   in Loop: Header=BB2_57 Depth=2
	s_or_b32 exec_lo, exec_lo, s17
.LBB2_100:                              ;   in Loop: Header=BB2_57 Depth=2
	s_or_b32 exec_lo, exec_lo, s16
	s_trap 2
	ds_read_b32 v3, v0
	v_and_b32_e32 v9, 0x4000, v71
	s_xor_b32 s16, s5, -1
	v_cmp_ne_u32_e32 vcc_lo, 0, v9
	s_and_b32 s17, s16, vcc_lo
	s_and_saveexec_b32 s16, s17
	s_cbranch_execz .LBB2_119
; %bb.101:                              ;   in Loop: Header=BB2_57 Depth=2
	s_and_saveexec_b32 s17, s29
	s_xor_b32 s17, exec_lo, s17
	s_cbranch_execz .LBB2_116
; %bb.102:                              ;   in Loop: Header=BB2_57 Depth=2
	s_and_saveexec_b32 s23, s11
	s_cbranch_execz .LBB2_115
; %bb.103:                              ;   in Loop: Header=BB2_57 Depth=2
	s_mov_b32 s62, exec_lo
	s_mov_b32 s61, exec_lo
	v_mbcnt_lo_u32_b32 v9, s62, 0
	s_waitcnt vmcnt(0) lgkmcnt(0)
	s_waitcnt_vscnt null, 0x0
	buffer_gl1_inv
	buffer_gl0_inv
	v_cmpx_eq_u32_e32 0, v9
	s_cbranch_execz .LBB2_105
; %bb.104:                              ;   in Loop: Header=BB2_57 Depth=2
	s_bcnt1_i32_b32 s62, s62
	v_mov_b32_e32 v51, v2
	v_mov_b32_e32 v50, s62
	ds_add_u64 v0, v[50:51]
	s_trap 2
.LBB2_105:                              ;   in Loop: Header=BB2_57 Depth=2
	s_or_b32 exec_lo, exec_lo, s61
	s_trap 2
	ds_read_b64 v[50:51], v0
	s_waitcnt lgkmcnt(0)
	buffer_gl0_inv
	v_add_co_u32 v12, vcc_lo, v12, v81
	v_add_co_ci_u32_e64 v13, null, 0, v13, vcc_lo
	s_mov_b32 s61, exec_lo
	v_cmpx_lt_u64_e64 v[50:51], v[12:13]
	s_cbranch_execz .LBB2_114
; %bb.106:                              ;   in Loop: Header=BB2_57 Depth=2
	s_mov_b32 s62, 0
	s_mov_b32 s73, 0
                                        ; implicit-def: $sgpr63
                                        ; implicit-def: $sgpr72
	s_inst_prefetch 0x1
	s_branch .LBB2_108
	.p2align	6
.LBB2_107:                              ;   in Loop: Header=BB2_108 Depth=3
	s_or_b32 exec_lo, exec_lo, s75
	s_and_b32 s74, exec_lo, s76
	s_or_b32 s62, s74, s62
	s_andn2_b32 s63, s63, exec_lo
	s_and_b32 s74, s72, exec_lo
	s_or_b32 s63, s63, s74
	s_andn2_b32 exec_lo, exec_lo, s62
	s_cbranch_execz .LBB2_112
.LBB2_108:                              ;   Parent Loop BB2_47 Depth=1
                                        ;     Parent Loop BB2_57 Depth=2
                                        ; =>    This Inner Loop Header: Depth=3
	s_add_i32 s73, s73, 1
	s_cmpk_lg_i32 s73, 0x2710
	s_cselect_b32 s74, -1, 0
	s_and_b32 vcc_lo, exec_lo, s74
	s_cbranch_vccz .LBB2_110
; %bb.109:                              ;   in Loop: Header=BB2_108 Depth=3
	s_mov_b32 s76, -1
	s_or_b32 s72, s72, exec_lo
	s_and_saveexec_b32 s75, s74
	s_cbranch_execz .LBB2_107
	s_branch .LBB2_111
	.p2align	6
.LBB2_110:                              ;   in Loop: Header=BB2_108 Depth=3
	s_trap 2
	ds_read_b64 v[50:51], v0
	s_andn2_b32 s74, s74, exec_lo
	s_mov_b32 s73, 0
	s_waitcnt lgkmcnt(0)
	flat_load_dword v9, v[50:51] glc dlc
	s_waitcnt vmcnt(0) lgkmcnt(0)
	buffer_gl1_inv
	buffer_gl0_inv
	v_cmp_eq_u32_e32 vcc_lo, 0, v9
	s_and_b32 s75, vcc_lo, exec_lo
	s_or_b32 s74, s74, s75
	s_mov_b32 s76, -1
	s_or_b32 s72, s72, exec_lo
	s_and_saveexec_b32 s75, s74
	s_cbranch_execz .LBB2_107
.LBB2_111:                              ;   in Loop: Header=BB2_108 Depth=3
	s_sleep 1
	s_trap 2
	ds_read_b64 v[50:51], v0
	s_waitcnt lgkmcnt(0)
	buffer_gl0_inv
	s_andn2_b32 s72, s72, exec_lo
	v_cmp_ge_u64_e32 vcc_lo, v[50:51], v[12:13]
	s_orn2_b32 s76, vcc_lo, exec_lo
	s_branch .LBB2_107
.LBB2_112:                              ;   in Loop: Header=BB2_57 Depth=2
	s_inst_prefetch 0x2
	s_or_b32 exec_lo, exec_lo, s62
	s_and_saveexec_b32 s62, s63
	s_xor_b32 s62, exec_lo, s62
	s_cbranch_execz .LBB2_114
; %bb.113:                              ;   in Loop: Header=BB2_57 Depth=2
	ds_write_b32 v0, v86
	s_trap 2
.LBB2_114:                              ;   in Loop: Header=BB2_57 Depth=2
	s_or_b32 exec_lo, exec_lo, s61
	;;#ASMSTART
	s_wakeup
	;;#ASMEND
.LBB2_115:                              ;   in Loop: Header=BB2_57 Depth=2
	s_or_b32 exec_lo, exec_lo, s23
.LBB2_116:                              ;   in Loop: Header=BB2_57 Depth=2
	s_andn2_saveexec_b32 s17, s17
	s_cbranch_execz .LBB2_118
; %bb.117:                              ;   in Loop: Header=BB2_57 Depth=2
	s_waitcnt vmcnt(0) lgkmcnt(0)
	s_waitcnt_vscnt null, 0x0
	buffer_gl1_inv
	buffer_gl0_inv
	s_barrier
.LBB2_118:                              ;   in Loop: Header=BB2_57 Depth=2
	s_or_b32 exec_lo, exec_lo, s17
.LBB2_119:                              ;   in Loop: Header=BB2_57 Depth=2
	s_or_b32 exec_lo, exec_lo, s16
	s_trap 2
	ds_read_b64 v[50:51], v0
	s_waitcnt lgkmcnt(0)
	v_cmp_eq_u64_e32 vcc_lo, 0, v[50:51]
	s_cbranch_vccnz .LBB2_127
; %bb.120:                              ;   in Loop: Header=BB2_57 Depth=2
	s_trap 2
	ds_read_b64 v[52:53], v0
	s_waitcnt lgkmcnt(0)
	v_cmp_eq_u64_e32 vcc_lo, 0, v[52:53]
	s_cbranch_vccnz .LBB2_127
; %bb.121:                              ;   in Loop: Header=BB2_57 Depth=2
	s_mov_b32 s16, -1
	s_and_saveexec_b32 s17, s12
	s_cbranch_execz .LBB2_123
; %bb.122:                              ;   in Loop: Header=BB2_57 Depth=2
	ds_read_b32 v9, v0 offset:720
	s_waitcnt lgkmcnt(0)
	v_and_b32_e32 v9, 15, v9
	v_cmp_eq_u32_e32 vcc_lo, 0, v9
	s_orn2_b32 s16, vcc_lo, exec_lo
.LBB2_123:                              ;   in Loop: Header=BB2_57 Depth=2
	s_or_b32 exec_lo, exec_lo, s17
	s_and_saveexec_b32 s17, s13
	s_cbranch_execz .LBB2_125
; %bb.124:                              ;   in Loop: Header=BB2_57 Depth=2
	ds_read_b32 v9, v0 offset:784
	s_waitcnt lgkmcnt(0)
	v_and_b32_e32 v9, 15, v9
	v_cmp_eq_u32_e32 vcc_lo, 0, v9
	s_and_b32 s23, s16, vcc_lo
	s_andn2_b32 s16, s16, exec_lo
	s_and_b32 s23, s23, exec_lo
	s_or_b32 s16, s16, s23
.LBB2_125:                              ;   in Loop: Header=BB2_57 Depth=2
	s_or_b32 exec_lo, exec_lo, s17
	v_cmp_eq_u32_e32 vcc_lo, 0, v3
	s_xor_b32 s16, s16, -1
	v_mov_b32_e32 v55, v0
	v_cndmask_b32_e64 v9, 0, 1, s16
	s_mov_b32 s16, -1
	v_cndmask_b32_e32 v3, 0, v8, vcc_lo
	v_cmp_ne_u32_e32 vcc_lo, 0, v9
	v_mov_b32_e32 v9, 0
	v_mov_b32_e32 v54, v3
	s_cbranch_vccz .LBB2_128
; %bb.126:                              ;   in Loop: Header=BB2_57 Depth=2
	s_and_saveexec_b32 s17, s16
	s_cbranch_execnz .LBB2_139
	s_branch .LBB2_147
.LBB2_127:                              ;   in Loop: Header=BB2_57 Depth=2
	s_mov_b32 s16, 0
	s_and_saveexec_b32 s17, s6
	s_cbranch_execnz .LBB2_148
	s_branch .LBB2_166
.LBB2_128:                              ;   in Loop: Header=BB2_57 Depth=2
	v_ashrrev_i32_e32 v9, 31, v3
	s_mov_b32 s17, exec_lo
	v_lshrrev_b32_e32 v9, 22, v9
	v_add_nc_u32_e32 v9, v3, v9
	v_ashrrev_i32_e32 v9, 10, v9
	v_sub_nc_u32_e32 v67, v9, v83
	v_cmpx_lt_i32_e32 0, v67
	s_cbranch_execz .LBB2_132
; %bb.129:                              ;   in Loop: Header=BB2_57 Depth=2
	v_mov_b32_e32 v55, v35
	v_mov_b32_e32 v54, v34
	s_mov_b32 s23, 0
	.p2align	6
.LBB2_130:                              ;   Parent Loop BB2_47 Depth=1
                                        ;     Parent Loop BB2_57 Depth=2
                                        ; =>    This Inner Loop Header: Depth=3
	v_add_co_u32 v68, vcc_lo, v50, v54
	v_add_co_ci_u32_e64 v69, null, v51, v55, vcc_lo
	v_sub_nc_u32_e32 v67, v67, v81
	s_clause 0x1
	global_load_dwordx4 v[40:43], v[68:69], off slc
	global_load_dwordx4 v[44:47], v[68:69], off offset:512 slc
	v_add_co_u32 v68, vcc_lo, v52, v54
	v_add_co_ci_u32_e64 v69, null, v53, v55, vcc_lo
	v_cmp_gt_i32_e32 vcc_lo, 1, v67
	v_add_co_u32 v54, s16, v54, v97
	v_add_co_ci_u32_e64 v55, null, 0, v55, s16
	s_or_b32 s23, vcc_lo, s23
	s_waitcnt vmcnt(1)
	global_store_dwordx4 v[68:69], v[40:43], off glc slc
	s_waitcnt vmcnt(0)
	global_store_dwordx4 v[68:69], v[44:47], off offset:512 glc slc
	s_andn2_b32 exec_lo, exec_lo, s23
	s_cbranch_execnz .LBB2_130
; %bb.131:                              ;   in Loop: Header=BB2_57 Depth=2
	s_or_b32 exec_lo, exec_lo, s23
.LBB2_132:                              ;   in Loop: Header=BB2_57 Depth=2
	s_or_b32 exec_lo, exec_lo, s17
	v_lshlrev_b32_e32 v66, 10, v9
	v_mov_b32_e32 v9, 0
	s_mov_b32 s16, 0
	s_mov_b32 s23, exec_lo
                                        ; implicit-def: $vgpr54
                                        ; implicit-def: $vgpr55
	v_cmpx_ne_u32_e64 v3, v66
	s_cbranch_execz .LBB2_138
; %bb.133:                              ;   in Loop: Header=BB2_57 Depth=2
	v_lshlrev_b32_e32 v9, 5, v67
	v_sub_nc_u32_e32 v67, v3, v66
	s_mov_b32 s61, exec_lo
	v_sub_nc_u32_e32 v9, v82, v9
	v_ashrrev_i32_e32 v55, 31, v67
	v_ashrrev_i32_e32 v54, 31, v9
	v_lshrrev_b32_e32 v55, 23, v55
	v_lshrrev_b32_e32 v54, 27, v54
	v_add_nc_u32_e32 v69, v67, v55
	v_add_nc_u32_e32 v54, v9, v54
	v_ashrrev_i32_e32 v119, 9, v69
	v_and_b32_e32 v68, 0xffffffe0, v54
	v_ashrrev_i32_e32 v118, 5, v54
	v_sub_nc_u32_e32 v55, v9, v68
	v_and_b32_e32 v9, 0xfffffe00, v69
	v_lshlrev_b32_e32 v68, 4, v55
	v_sub_nc_u32_e32 v54, v67, v9
	v_lshl_add_u32 v69, v118, 9, v68
	v_cmp_lt_i32_e32 vcc_lo, 15, v54
	v_sub_nc_u32_e32 v68, v67, v69
	v_add_co_ci_u32_e64 v119, null, 0, v119, vcc_lo
	v_sub_nc_u32_e32 v67, v119, v118
	v_cmpx_lt_i32_e32 15, v68
	s_cbranch_execz .LBB2_137
; %bb.134:                              ;   in Loop: Header=BB2_57 Depth=2
	v_add_nc_u32_e32 v69, v69, v66
	s_mov_b32 s62, 0
	v_ashrrev_i32_e32 v118, 31, v69
	.p2align	6
.LBB2_135:                              ;   Parent Loop BB2_47 Depth=1
                                        ;     Parent Loop BB2_57 Depth=2
                                        ; =>    This Inner Loop Header: Depth=3
	v_add_co_u32 v40, s16, v50, v69
	v_add_co_ci_u32_e64 v41, null, v51, v118, s16
	v_sub_nc_u32_e32 v68, v68, v98
	v_add_co_u32 v44, s16, v52, v69
	global_load_dwordx4 v[40:43], v[40:41], off slc
	v_add_co_ci_u32_e64 v45, null, v53, v118, s16
	v_cmp_gt_i32_e64 s16, 16, v68
	v_add_co_u32 v69, s17, v69, v98
	v_sub_nc_u32_e32 v67, v67, v81
	v_add_co_ci_u32_e64 v118, null, 0, v118, s17
	s_or_b32 s62, s16, s62
	s_waitcnt vmcnt(0)
	global_store_dwordx4 v[44:45], v[40:43], off glc slc
	s_andn2_b32 exec_lo, exec_lo, s62
	s_cbranch_execnz .LBB2_135
; %bb.136:                              ;   in Loop: Header=BB2_57 Depth=2
	s_or_b32 exec_lo, exec_lo, s62
.LBB2_137:                              ;   in Loop: Header=BB2_57 Depth=2
	s_or_b32 exec_lo, exec_lo, s61
	v_and_b32_e32 v68, 15, v3
	v_cmp_lt_i32_e64 s16, 0, v67
	v_sub_nc_u32_e32 v69, v54, v68
	v_cndmask_b32_e64 v118, 0, v81, s16
	v_cndmask_b32_e32 v54, v54, v68, vcc_lo
	v_cndmask_b32_e32 v68, 0, v69, vcc_lo
	v_sub_nc_u32_e32 v67, v118, v67
	v_cmp_ne_u32_e32 vcc_lo, 0, v54
	v_add3_u32 v9, v9, v66, v68
	v_lshl_add_u32 v55, v67, 5, v55
	s_and_b32 s16, vcc_lo, exec_lo
.LBB2_138:                              ;   in Loop: Header=BB2_57 Depth=2
	s_or_b32 exec_lo, exec_lo, s23
	s_and_saveexec_b32 s17, s16
	s_cbranch_execz .LBB2_147
.LBB2_139:                              ;   in Loop: Header=BB2_57 Depth=2
	v_ashrrev_i32_e32 v66, 31, v55
	v_ashrrev_i32_e32 v67, 31, v54
	s_mov_b32 s16, exec_lo
	v_lshrrev_b32_e32 v66, 27, v66
	v_add_nc_u32_sdwa v67, v54, v67 dst_sel:DWORD dst_unused:UNUSED_PAD src0_sel:DWORD src1_sel:BYTE_3
	v_add_nc_u32_e32 v69, v55, v66
	v_ashrrev_i32_e32 v68, 8, v67
	v_ashrrev_i32_e32 v66, 5, v69
	v_sub_nc_u32_e32 v67, v68, v66
	v_cmpx_lt_i32_e32 0, v67
	s_cbranch_execz .LBB2_143
; %bb.140:                              ;   in Loop: Header=BB2_57 Depth=2
	v_and_b32_e32 v69, 0xffffffe0, v69
	v_lshlrev_b32_e32 v118, 8, v66
	s_mov_b32 s23, 0
	v_sub_nc_u32_e32 v69, v55, v69
	v_add3_u32 v69, v9, v69, v118
	v_ashrrev_i32_e32 v118, 31, v69
.LBB2_141:                              ;   Parent Loop BB2_47 Depth=1
                                        ;     Parent Loop BB2_57 Depth=2
                                        ; =>    This Inner Loop Header: Depth=3
	v_add_co_u32 v40, vcc_lo, v69, v50
	v_add_co_ci_u32_e64 v41, null, v118, v51, vcc_lo
	v_sub_nc_u32_e32 v67, v67, v81
	s_clause 0x7
	flat_load_ubyte v119, v[40:41] slc
	flat_load_ubyte v42, v[40:41] offset:32 slc
	flat_load_ubyte v43, v[40:41] offset:64 slc
	;; [unrolled: 1-line block ×7, first 2 shown]
	v_add_co_u32 v40, vcc_lo, v69, v52
	v_add_co_ci_u32_e64 v41, null, v118, v53, vcc_lo
	v_add_co_u32 v50, vcc_lo, v50, v99
	v_add_co_ci_u32_e64 v51, null, 0, v51, vcc_lo
	;; [unrolled: 2-line block ×3, first 2 shown]
	v_cmp_gt_i32_e32 vcc_lo, 1, v67
	s_waitcnt vmcnt(7) lgkmcnt(7)
	flat_store_byte v[40:41], v119 glc slc
	s_waitcnt vmcnt(6) lgkmcnt(7)
	flat_store_byte v[40:41], v42 offset:32 glc slc
	s_waitcnt vmcnt(5) lgkmcnt(7)
	flat_store_byte v[40:41], v43 offset:64 glc slc
	;; [unrolled: 2-line block ×7, first 2 shown]
	s_or_b32 s23, vcc_lo, s23
	s_andn2_b32 exec_lo, exec_lo, s23
	s_cbranch_execnz .LBB2_141
; %bb.142:                              ;   in Loop: Header=BB2_57 Depth=2
	s_or_b32 exec_lo, exec_lo, s23
.LBB2_143:                              ;   in Loop: Header=BB2_57 Depth=2
	s_or_b32 exec_lo, exec_lo, s16
	v_lshlrev_b32_e32 v50, 8, v68
	v_cmp_ne_u32_e32 vcc_lo, v54, v50
	s_and_b32 exec_lo, exec_lo, vcc_lo
	s_cbranch_execz .LBB2_147
; %bb.144:                              ;   in Loop: Header=BB2_57 Depth=2
	v_lshlrev_b32_e32 v51, 5, v66
	v_lshlrev_b32_e32 v52, 5, v67
	v_sub_nc_u32_e32 v51, v55, v51
	v_sub_nc_u32_e32 v51, v51, v52
	v_add_nc_u32_e32 v53, v50, v51
	v_sub_nc_u32_e32 v52, v54, v53
	v_cmp_lt_i32_e32 vcc_lo, 0, v52
	s_and_b32 exec_lo, exec_lo, vcc_lo
	s_cbranch_execz .LBB2_147
; %bb.145:                              ;   in Loop: Header=BB2_57 Depth=2
	s_trap 2
	ds_read_b64 v[50:51], v0
	v_add_nc_u32_e32 v9, v53, v9
	s_mov_b32 s23, 0
	v_ashrrev_i32_e32 v53, 31, v9
	.p2align	6
.LBB2_146:                              ;   Parent Loop BB2_47 Depth=1
                                        ;     Parent Loop BB2_57 Depth=2
                                        ; =>    This Inner Loop Header: Depth=3
	s_waitcnt lgkmcnt(0)
	v_add_co_u32 v54, vcc_lo, v50, v9
	v_add_co_ci_u32_e64 v55, null, v51, v53, vcc_lo
	v_sub_nc_u32_e32 v52, v52, v84
	v_add_co_u32 v9, s16, v9, v84
	flat_load_ubyte v66, v[54:55] slc
	v_add_co_ci_u32_e64 v53, null, 0, v53, s16
	v_cmp_gt_i32_e32 vcc_lo, 1, v52
	s_or_b32 s23, vcc_lo, s23
	s_waitcnt vmcnt(0) lgkmcnt(0)
	flat_store_byte v[54:55], v66 glc slc
	s_andn2_b32 exec_lo, exec_lo, s23
	s_cbranch_execnz .LBB2_146
.LBB2_147:                              ;   in Loop: Header=BB2_57 Depth=2
	s_or_b32 exec_lo, exec_lo, s17
	v_cmp_lt_i32_e64 s16, 0, v3
	s_and_saveexec_b32 s17, s6
	s_cbranch_execz .LBB2_166
.LBB2_148:                              ;   in Loop: Header=BB2_57 Depth=2
	s_and_saveexec_b32 s23, s29
	s_xor_b32 s23, exec_lo, s23
	s_cbranch_execz .LBB2_163
; %bb.149:                              ;   in Loop: Header=BB2_57 Depth=2
	s_and_saveexec_b32 s61, s11
	s_cbranch_execz .LBB2_162
; %bb.150:                              ;   in Loop: Header=BB2_57 Depth=2
	s_mov_b32 s63, exec_lo
	s_mov_b32 s62, exec_lo
	v_mbcnt_lo_u32_b32 v3, s63, 0
	s_waitcnt vmcnt(0) lgkmcnt(0)
	s_waitcnt_vscnt null, 0x0
	buffer_gl1_inv
	buffer_gl0_inv
	v_cmpx_eq_u32_e32 0, v3
	s_cbranch_execz .LBB2_152
; %bb.151:                              ;   in Loop: Header=BB2_57 Depth=2
	s_bcnt1_i32_b32 s63, s63
	v_mov_b32_e32 v51, v2
	v_mov_b32_e32 v50, s63
	ds_add_u64 v0, v[50:51]
	s_trap 2
.LBB2_152:                              ;   in Loop: Header=BB2_57 Depth=2
	s_or_b32 exec_lo, exec_lo, s62
	s_trap 2
	ds_read_b64 v[50:51], v0
	s_waitcnt lgkmcnt(0)
	buffer_gl0_inv
	v_add_co_u32 v12, vcc_lo, v12, v81
	v_add_co_ci_u32_e64 v13, null, 0, v13, vcc_lo
	s_mov_b32 s62, exec_lo
	v_cmpx_lt_u64_e64 v[50:51], v[12:13]
	s_cbranch_execz .LBB2_161
; %bb.153:                              ;   in Loop: Header=BB2_57 Depth=2
	s_mov_b32 s63, 0
	s_mov_b32 s74, 0
                                        ; implicit-def: $sgpr72
                                        ; implicit-def: $sgpr73
	s_inst_prefetch 0x1
	s_branch .LBB2_155
	.p2align	6
.LBB2_154:                              ;   in Loop: Header=BB2_155 Depth=3
	s_or_b32 exec_lo, exec_lo, s76
	s_and_b32 s75, exec_lo, s77
	s_or_b32 s63, s75, s63
	s_andn2_b32 s72, s72, exec_lo
	s_and_b32 s75, s73, exec_lo
	s_or_b32 s72, s72, s75
	s_andn2_b32 exec_lo, exec_lo, s63
	s_cbranch_execz .LBB2_159
.LBB2_155:                              ;   Parent Loop BB2_47 Depth=1
                                        ;     Parent Loop BB2_57 Depth=2
                                        ; =>    This Inner Loop Header: Depth=3
	s_add_i32 s74, s74, 1
	s_cmpk_lg_i32 s74, 0x2710
	s_cselect_b32 s75, -1, 0
	s_and_b32 vcc_lo, exec_lo, s75
	s_cbranch_vccz .LBB2_157
; %bb.156:                              ;   in Loop: Header=BB2_155 Depth=3
	s_mov_b32 s77, -1
	s_or_b32 s73, s73, exec_lo
	s_and_saveexec_b32 s76, s75
	s_cbranch_execz .LBB2_154
	s_branch .LBB2_158
	.p2align	6
.LBB2_157:                              ;   in Loop: Header=BB2_155 Depth=3
	s_trap 2
	ds_read_b64 v[50:51], v0
	s_andn2_b32 s75, s75, exec_lo
	s_mov_b32 s74, 0
	s_waitcnt lgkmcnt(0)
	flat_load_dword v3, v[50:51] glc dlc
	s_waitcnt vmcnt(0) lgkmcnt(0)
	buffer_gl1_inv
	buffer_gl0_inv
	v_cmp_eq_u32_e32 vcc_lo, 0, v3
	s_and_b32 s76, vcc_lo, exec_lo
	s_or_b32 s75, s75, s76
	s_mov_b32 s77, -1
	s_or_b32 s73, s73, exec_lo
	s_and_saveexec_b32 s76, s75
	s_cbranch_execz .LBB2_154
.LBB2_158:                              ;   in Loop: Header=BB2_155 Depth=3
	s_sleep 1
	s_trap 2
	ds_read_b64 v[50:51], v0
	s_waitcnt lgkmcnt(0)
	buffer_gl0_inv
	s_andn2_b32 s73, s73, exec_lo
	v_cmp_ge_u64_e32 vcc_lo, v[50:51], v[12:13]
	s_orn2_b32 s77, vcc_lo, exec_lo
	s_branch .LBB2_154
.LBB2_159:                              ;   in Loop: Header=BB2_57 Depth=2
	s_inst_prefetch 0x2
	s_or_b32 exec_lo, exec_lo, s63
	s_and_saveexec_b32 s63, s72
	s_xor_b32 s63, exec_lo, s63
	s_cbranch_execz .LBB2_161
; %bb.160:                              ;   in Loop: Header=BB2_57 Depth=2
	ds_write_b32 v0, v86
	s_trap 2
.LBB2_161:                              ;   in Loop: Header=BB2_57 Depth=2
	s_or_b32 exec_lo, exec_lo, s62
	;;#ASMSTART
	s_wakeup
	;;#ASMEND
.LBB2_162:                              ;   in Loop: Header=BB2_57 Depth=2
	s_or_b32 exec_lo, exec_lo, s61
.LBB2_163:                              ;   in Loop: Header=BB2_57 Depth=2
	s_andn2_saveexec_b32 s23, s23
	s_cbranch_execz .LBB2_165
; %bb.164:                              ;   in Loop: Header=BB2_57 Depth=2
	s_waitcnt vmcnt(0) lgkmcnt(0)
	s_waitcnt_vscnt null, 0x0
	buffer_gl1_inv
	buffer_gl0_inv
	s_barrier
.LBB2_165:                              ;   in Loop: Header=BB2_57 Depth=2
	s_or_b32 exec_lo, exec_lo, s23
.LBB2_166:                              ;   in Loop: Header=BB2_57 Depth=2
	s_or_b32 exec_lo, exec_lo, s17
	v_and_b32_e32 v3, 16, v71
	s_and_saveexec_b32 s17, s15
	s_xor_b32 s17, exec_lo, s17
	s_cbranch_execz .LBB2_170
; %bb.167:                              ;   in Loop: Header=BB2_57 Depth=2
	v_and_b32_e32 v3, 16, v71
	v_cmp_ne_u32_e32 vcc_lo, 0, v3
	v_and_b32_e32 v3, 16, v71
	s_and_b32 s23, vcc_lo, s16
	s_and_saveexec_b32 s16, s23
	s_cbranch_execz .LBB2_169
; %bb.168:                              ;   in Loop: Header=BB2_57 Depth=2
	v_mov_b32_e32 v3, 1
	s_waitcnt vmcnt(0) lgkmcnt(0)
	s_waitcnt_vscnt null, 0x0
	buffer_gl1_inv
	buffer_gl0_inv
.LBB2_169:                              ;   in Loop: Header=BB2_57 Depth=2
	s_or_b32 exec_lo, exec_lo, s16
.LBB2_170:                              ;   in Loop: Header=BB2_57 Depth=2
	s_andn2_saveexec_b32 s16, s17
	s_cbranch_execz .LBB2_189
; %bb.171:                              ;   in Loop: Header=BB2_57 Depth=2
	s_and_saveexec_b32 s17, s29
	s_xor_b32 s17, exec_lo, s17
	s_cbranch_execz .LBB2_186
; %bb.172:                              ;   in Loop: Header=BB2_57 Depth=2
	s_and_saveexec_b32 s23, s11
	s_cbranch_execz .LBB2_185
; %bb.173:                              ;   in Loop: Header=BB2_57 Depth=2
	s_mov_b32 s62, exec_lo
	s_mov_b32 s61, exec_lo
	v_mbcnt_lo_u32_b32 v9, s62, 0
	;;#ASMSTART
	s_waitcnt lgkmcnt(0) vmcnt(0)
	;;#ASMEND
	v_cmpx_eq_u32_e32 0, v9
	s_cbranch_execz .LBB2_175
; %bb.174:                              ;   in Loop: Header=BB2_57 Depth=2
	s_bcnt1_i32_b32 s62, s62
	v_mov_b32_e32 v51, v2
	v_mov_b32_e32 v50, s62
	s_waitcnt vmcnt(0) lgkmcnt(0)
	s_waitcnt_vscnt null, 0x0
	ds_add_u64 v0, v[50:51]
	s_trap 2
.LBB2_175:                              ;   in Loop: Header=BB2_57 Depth=2
	s_or_b32 exec_lo, exec_lo, s61
	s_trap 2
	ds_read_b64 v[50:51], v0
	s_waitcnt vmcnt(0) lgkmcnt(0)
	buffer_gl0_inv
	v_add_co_u32 v12, vcc_lo, v12, v81
	v_add_co_ci_u32_e64 v13, null, 0, v13, vcc_lo
	s_mov_b32 s61, exec_lo
	v_cmpx_lt_u64_e64 v[50:51], v[12:13]
	s_cbranch_execz .LBB2_184
; %bb.176:                              ;   in Loop: Header=BB2_57 Depth=2
	s_mov_b32 s62, 0
	s_mov_b32 s73, 0
                                        ; implicit-def: $sgpr63
                                        ; implicit-def: $sgpr72
	s_inst_prefetch 0x1
	s_branch .LBB2_178
	.p2align	6
.LBB2_177:                              ;   in Loop: Header=BB2_178 Depth=3
	s_or_b32 exec_lo, exec_lo, s75
	s_and_b32 s74, exec_lo, s76
	s_or_b32 s62, s74, s62
	s_andn2_b32 s63, s63, exec_lo
	s_and_b32 s74, s72, exec_lo
	s_or_b32 s63, s63, s74
	s_andn2_b32 exec_lo, exec_lo, s62
	s_cbranch_execz .LBB2_182
.LBB2_178:                              ;   Parent Loop BB2_47 Depth=1
                                        ;     Parent Loop BB2_57 Depth=2
                                        ; =>    This Inner Loop Header: Depth=3
	s_add_i32 s73, s73, 1
	s_cmpk_lg_i32 s73, 0x2710
	s_cselect_b32 s74, -1, 0
	s_and_b32 vcc_lo, exec_lo, s74
	s_cbranch_vccz .LBB2_180
; %bb.179:                              ;   in Loop: Header=BB2_178 Depth=3
	s_mov_b32 s76, -1
	s_or_b32 s72, s72, exec_lo
	s_and_saveexec_b32 s75, s74
	s_cbranch_execz .LBB2_177
	s_branch .LBB2_181
	.p2align	6
.LBB2_180:                              ;   in Loop: Header=BB2_178 Depth=3
	s_trap 2
	ds_read_b64 v[50:51], v0
	s_andn2_b32 s74, s74, exec_lo
	s_mov_b32 s73, 0
	s_waitcnt lgkmcnt(0)
	s_waitcnt_vscnt null, 0x0
	flat_load_dword v9, v[50:51] glc dlc
	s_waitcnt vmcnt(0) lgkmcnt(0)
	buffer_gl1_inv
	buffer_gl0_inv
	v_cmp_eq_u32_e32 vcc_lo, 0, v9
	s_and_b32 s75, vcc_lo, exec_lo
	s_or_b32 s74, s74, s75
	s_mov_b32 s76, -1
	s_or_b32 s72, s72, exec_lo
	s_and_saveexec_b32 s75, s74
	s_cbranch_execz .LBB2_177
.LBB2_181:                              ;   in Loop: Header=BB2_178 Depth=3
	s_sleep 1
	s_trap 2
	ds_read_b64 v[50:51], v0
	s_waitcnt lgkmcnt(0)
	buffer_gl0_inv
	s_andn2_b32 s72, s72, exec_lo
	v_cmp_ge_u64_e32 vcc_lo, v[50:51], v[12:13]
	s_orn2_b32 s76, vcc_lo, exec_lo
	s_branch .LBB2_177
.LBB2_182:                              ;   in Loop: Header=BB2_57 Depth=2
	s_inst_prefetch 0x2
	s_or_b32 exec_lo, exec_lo, s62
	s_and_saveexec_b32 s62, s63
	s_xor_b32 s62, exec_lo, s62
	s_cbranch_execz .LBB2_184
; %bb.183:                              ;   in Loop: Header=BB2_57 Depth=2
	ds_write_b32 v0, v86
	s_trap 2
.LBB2_184:                              ;   in Loop: Header=BB2_57 Depth=2
	s_or_b32 exec_lo, exec_lo, s61
	;;#ASMSTART
	s_wakeup
	;;#ASMEND
.LBB2_185:                              ;   in Loop: Header=BB2_57 Depth=2
	s_or_b32 exec_lo, exec_lo, s23
.LBB2_186:                              ;   in Loop: Header=BB2_57 Depth=2
	s_andn2_saveexec_b32 s17, s17
	s_cbranch_execz .LBB2_188
; %bb.187:                              ;   in Loop: Header=BB2_57 Depth=2
	;;#ASMSTART
	s_waitcnt lgkmcnt(0) vmcnt(0)
	;;#ASMEND
	s_barrier
.LBB2_188:                              ;   in Loop: Header=BB2_57 Depth=2
	s_or_b32 exec_lo, exec_lo, s17
.LBB2_189:                              ;   in Loop: Header=BB2_57 Depth=2
	s_or_b32 exec_lo, exec_lo, s16
	s_mov_b32 s16, exec_lo
	v_cmpx_ne_u32_e32 0, v3
	s_cbranch_execz .LBB2_56
; %bb.190:                              ;   in Loop: Header=BB2_57 Depth=2
	s_and_saveexec_b32 s17, s10
	s_cbranch_execz .LBB2_55
; %bb.191:                              ;   in Loop: Header=BB2_57 Depth=2
	s_waitcnt vmcnt(0) lgkmcnt(0)
	s_waitcnt_vscnt null, 0x0
	flat_store_dword v[24:25], v86
	s_branch .LBB2_55
.LBB2_192:                              ;   in Loop: Header=BB2_47 Depth=1
	s_or_b32 exec_lo, exec_lo, s19
.LBB2_193:                              ;   in Loop: Header=BB2_47 Depth=1
	s_or_b32 exec_lo, exec_lo, s18
	s_mov_b32 s17, exec_lo
	v_cmpx_gt_i32_e32 2, v3
	s_cbranch_execz .LBB2_265
; %bb.194:                              ;   in Loop: Header=BB2_47 Depth=1
	v_cmp_eq_u32_e64 s19, 0, v3
	s_mov_b32 s18, 0
	s_branch .LBB2_197
.LBB2_195:                              ;   in Loop: Header=BB2_197 Depth=2
	s_or_b32 exec_lo, exec_lo, s19
	v_add_co_u32 v38, vcc_lo, v38, 2
	v_add_co_ci_u32_e64 v39, null, 0, v39, vcc_lo
	s_waitcnt vmcnt(0) lgkmcnt(0)
	s_waitcnt_vscnt null, 0x0
	flat_store_dwordx2 v[20:21], v[38:39]
.LBB2_196:                              ;   in Loop: Header=BB2_197 Depth=2
	s_or_b32 exec_lo, exec_lo, s16
	v_add_nc_u32_e32 v65, v8, v65
	s_mov_b32 s19, 0
	s_andn2_b32 exec_lo, exec_lo, s18
	s_cbranch_execz .LBB2_264
.LBB2_197:                              ;   Parent Loop BB2_47 Depth=1
                                        ; =>  This Loop Header: Depth=2
                                        ;       Child Loop BB2_203 Depth 3
                                        ;       Child Loop BB2_227 Depth 3
                                        ;       Child Loop BB2_250 Depth 3
	v_sub_nc_u32_e32 v3, v64, v65
	v_and_b32_e32 v9, 8, v71
	s_mov_b32 s21, exec_lo
	v_min_i32_e32 v8, v8, v3
	v_cmpx_ne_u32_e32 0, v9
	s_cbranch_execz .LBB2_219
; %bb.198:                              ;   in Loop: Header=BB2_197 Depth=2
	s_waitcnt vmcnt(0) lgkmcnt(1)
	v_add_co_u32 v50, vcc_lo, v26, 8
	v_add_co_ci_u32_e64 v51, null, 0, v27, vcc_lo
	v_add_co_u32 v10, vcc_lo, v38, 2
	v_add_co_ci_u32_e64 v11, null, 0, v39, vcc_lo
	s_mov_b32 s22, exec_lo
	v_cmpx_lt_u64_e64 v[50:51], v[10:11]
	s_cbranch_execz .LBB2_210
; %bb.199:                              ;   in Loop: Header=BB2_197 Depth=2
	v_and_b32_e32 v3, 64, v71
	s_mov_b32 s23, 0
	s_mov_b32 s72, 0
                                        ; implicit-def: $sgpr61
                                        ; implicit-def: $sgpr62
                                        ; implicit-def: $sgpr63
	v_cmp_eq_u32_e32 vcc_lo, 0, v3
	s_branch .LBB2_203
.LBB2_200:                              ;   in Loop: Header=BB2_203 Depth=3
	s_waitcnt vmcnt(0) lgkmcnt(0)
	v_add_co_u32 v50, s16, v26, 8
	v_add_co_ci_u32_e64 v51, null, 0, v27, s16
	s_or_b32 s75, s75, exec_lo
	v_cmp_ge_u64_e64 s16, v[50:51], v[10:11]
	s_orn2_b32 s74, s16, exec_lo
.LBB2_201:                              ;   in Loop: Header=BB2_203 Depth=3
	s_or_b32 exec_lo, exec_lo, s77
	s_andn2_b32 s16, s63, exec_lo
	s_and_b32 s63, s75, exec_lo
	s_andn2_b32 s62, s62, exec_lo
	s_and_b32 s74, s74, exec_lo
	s_or_b32 s63, s16, s63
	s_or_b32 s62, s62, s74
.LBB2_202:                              ;   in Loop: Header=BB2_203 Depth=3
	s_or_b32 exec_lo, exec_lo, s73
	s_and_b32 s16, exec_lo, s62
	s_or_b32 s23, s16, s23
	s_andn2_b32 s16, s61, exec_lo
	s_and_b32 s61, s63, exec_lo
	s_or_b32 s61, s16, s61
	s_andn2_b32 exec_lo, exec_lo, s23
	s_cbranch_execz .LBB2_207
.LBB2_203:                              ;   Parent Loop BB2_47 Depth=1
                                        ;     Parent Loop BB2_197 Depth=2
                                        ; =>    This Inner Loop Header: Depth=3
	s_sleep 1
	s_waitcnt vmcnt(0) lgkmcnt(0)
	flat_load_dwordx2 v[26:27], v[20:21] glc dlc
	s_or_b32 s63, s63, exec_lo
	s_or_b32 s62, s62, exec_lo
                                        ; implicit-def: $vgpr3
	s_and_saveexec_b32 s73, vcc_lo
	s_cbranch_execz .LBB2_202
; %bb.204:                              ;   in Loop: Header=BB2_203 Depth=3
	s_cmpk_lt_i32 s72, 0x270f
	s_mov_b32 s74, -1
	s_cselect_b32 s76, -1, 0
	s_cmpk_gt_i32 s72, 0x270e
	s_cbranch_scc0 .LBB2_206
; %bb.205:                              ;   in Loop: Header=BB2_203 Depth=3
	s_trap 2
	ds_read_b64 v[50:51], v0
	s_andn2_b32 s72, s76, exec_lo
	s_mov_b32 s75, 0
	s_waitcnt vmcnt(0) lgkmcnt(0)
	s_waitcnt_vscnt null, 0x0
	flat_load_dword v3, v[50:51] glc dlc
	s_waitcnt vmcnt(0) lgkmcnt(0)
	buffer_gl1_inv
	buffer_gl0_inv
	v_cmp_eq_u32_e64 s16, 0, v3
	s_and_b32 s16, s16, exec_lo
	s_or_b32 s76, s72, s16
	s_mov_b32 s72, 0
	s_and_saveexec_b32 s77, s76
	s_cbranch_execz .LBB2_201
	s_branch .LBB2_200
.LBB2_206:                              ;   in Loop: Header=BB2_203 Depth=3
	s_add_i32 s72, s72, 1
	s_mov_b32 s75, -1
                                        ; implicit-def: $vgpr3
	s_and_saveexec_b32 s77, s76
	s_cbranch_execz .LBB2_201
	s_branch .LBB2_200
.LBB2_207:                              ;   in Loop: Header=BB2_197 Depth=2
	s_or_b32 exec_lo, exec_lo, s23
	s_xor_b32 s16, s61, -1
	s_and_saveexec_b32 s23, s16
	s_xor_b32 s16, exec_lo, s23
	s_cbranch_execz .LBB2_209
; %bb.208:                              ;   in Loop: Header=BB2_197 Depth=2
	v_or_b32_e32 v71, 64, v71
	s_waitcnt vmcnt(0) lgkmcnt(0)
	s_waitcnt_vscnt null, 0x0
	ds_write_b32 v0, v3
	s_trap 2
.LBB2_209:                              ;   in Loop: Header=BB2_197 Depth=2
	s_or_b32 exec_lo, exec_lo, s16
.LBB2_210:                              ;   in Loop: Header=BB2_197 Depth=2
	s_or_b32 exec_lo, exec_lo, s22
	v_and_b32_e32 v3, 0x100, v71
	s_mov_b32 s16, -1
	;;#ASMSTART
	s_wakeup
	;;#ASMEND
	v_cmp_ne_u32_e32 vcc_lo, 0, v3
	v_and_b32_e32 v3, 7, v38
                                        ; implicit-def: $vgpr38_vgpr39
	s_and_saveexec_b32 s22, vcc_lo
	s_cbranch_execz .LBB2_214
; %bb.211:                              ;   in Loop: Header=BB2_197 Depth=2
	v_mad_u64_u32 v[50:51], null, v3, 24, v[6:7]
	v_ashrrev_i32_e32 v9, 31, v8
	flat_load_dword v38, v[50:51]
	flat_store_dwordx2 v[50:51], v[8:9] offset:8
	s_waitcnt vmcnt(0) lgkmcnt(1)
	v_cmp_eq_u32_e64 s16, 1, v38
	v_cmp_ne_u32_e32 vcc_lo, 1, v38
                                        ; implicit-def: $vgpr38_vgpr39
	s_and_saveexec_b32 s23, s16
	s_cbranch_execz .LBB2_213
; %bb.212:                              ;   in Loop: Header=BB2_197 Depth=2
	flat_load_dword v38, v[50:51] offset:4 glc dlc
	s_waitcnt vmcnt(0) lgkmcnt(0)
	v_ashrrev_i32_e32 v39, 31, v38
.LBB2_213:                              ;   in Loop: Header=BB2_197 Depth=2
	s_or_b32 exec_lo, exec_lo, s23
	s_orn2_b32 s16, vcc_lo, exec_lo
.LBB2_214:                              ;   in Loop: Header=BB2_197 Depth=2
	s_or_b32 exec_lo, exec_lo, s22
	s_and_saveexec_b32 s22, s16
; %bb.215:                              ;   in Loop: Header=BB2_197 Depth=2
	v_mad_i64_i32 v[38:39], null, v3, v80, 0
; %bb.216:                              ;   in Loop: Header=BB2_197 Depth=2
	s_or_b32 exec_lo, exec_lo, s22
	v_add_co_u32 v38, vcc_lo, v22, v38
	v_and_b32_e32 v3, 0x2000, v71
	v_add_co_ci_u32_e64 v39, null, v23, v39, vcc_lo
	s_mov_b32 s16, exec_lo
	ds_write_b64 v0, v[38:39] offset:784
	v_cmpx_ne_u32_e32 0, v3
	s_cbranch_execz .LBB2_218
; %bb.217:                              ;   in Loop: Header=BB2_197 Depth=2
	ds_read_b64 v[38:39], v0 offset:872
	s_waitcnt lgkmcnt(0)
	v_add_co_u32 v38, vcc_lo, v38, 1
	v_add_co_ci_u32_e64 v39, null, 0, v39, vcc_lo
	ds_write_b64 v0, v[38:39] offset:872
.LBB2_218:                              ;   in Loop: Header=BB2_197 Depth=2
	s_or_b32 exec_lo, exec_lo, s16
	v_mov_b32_e32 v39, v11
	v_mov_b32_e32 v38, v10
.LBB2_219:                              ;   in Loop: Header=BB2_197 Depth=2
	s_or_b32 exec_lo, exec_lo, s21
	s_xor_b32 s16, s19, -1
	s_and_b32 s16, exec_lo, s16
	s_or_b32 s18, s16, s18
	s_and_saveexec_b32 s16, s6
	s_cbranch_execz .LBB2_238
; %bb.220:                              ;   in Loop: Header=BB2_197 Depth=2
	s_and_saveexec_b32 s19, s29
	s_xor_b32 s19, exec_lo, s19
	s_cbranch_execz .LBB2_235
; %bb.221:                              ;   in Loop: Header=BB2_197 Depth=2
	s_and_saveexec_b32 s21, s11
	s_cbranch_execz .LBB2_234
; %bb.222:                              ;   in Loop: Header=BB2_197 Depth=2
	s_mov_b32 s23, exec_lo
	s_mov_b32 s22, exec_lo
	v_mbcnt_lo_u32_b32 v3, s23, 0
	s_waitcnt vmcnt(0) lgkmcnt(0)
	s_waitcnt_vscnt null, 0x0
	buffer_gl1_inv
	buffer_gl0_inv
	v_cmpx_eq_u32_e32 0, v3
	s_cbranch_execz .LBB2_224
; %bb.223:                              ;   in Loop: Header=BB2_197 Depth=2
	s_bcnt1_i32_b32 s23, s23
	v_mov_b32_e32 v10, v2
	v_mov_b32_e32 v9, s23
	ds_add_u64 v0, v[9:10]
	s_trap 2
.LBB2_224:                              ;   in Loop: Header=BB2_197 Depth=2
	s_or_b32 exec_lo, exec_lo, s22
	s_trap 2
	ds_read_b64 v[9:10], v0
	s_waitcnt lgkmcnt(0)
	buffer_gl0_inv
	v_add_co_u32 v12, vcc_lo, v12, v81
	v_add_co_ci_u32_e64 v13, null, 0, v13, vcc_lo
	s_mov_b32 s22, exec_lo
	v_cmpx_lt_u64_e64 v[9:10], v[12:13]
	s_cbranch_execz .LBB2_233
; %bb.225:                              ;   in Loop: Header=BB2_197 Depth=2
	s_mov_b32 s23, 0
	s_mov_b32 s63, 0
                                        ; implicit-def: $sgpr61
                                        ; implicit-def: $sgpr62
	s_inst_prefetch 0x1
	s_branch .LBB2_227
	.p2align	6
.LBB2_226:                              ;   in Loop: Header=BB2_227 Depth=3
	s_or_b32 exec_lo, exec_lo, s73
	s_and_b32 s72, exec_lo, s74
	s_or_b32 s23, s72, s23
	s_andn2_b32 s61, s61, exec_lo
	s_and_b32 s72, s62, exec_lo
	s_or_b32 s61, s61, s72
	s_andn2_b32 exec_lo, exec_lo, s23
	s_cbranch_execz .LBB2_231
.LBB2_227:                              ;   Parent Loop BB2_47 Depth=1
                                        ;     Parent Loop BB2_197 Depth=2
                                        ; =>    This Inner Loop Header: Depth=3
	s_add_i32 s63, s63, 1
	s_cmpk_lg_i32 s63, 0x2710
	s_cselect_b32 s72, -1, 0
	s_and_b32 vcc_lo, exec_lo, s72
	s_cbranch_vccz .LBB2_229
; %bb.228:                              ;   in Loop: Header=BB2_227 Depth=3
	s_mov_b32 s74, -1
	s_or_b32 s62, s62, exec_lo
	s_and_saveexec_b32 s73, s72
	s_cbranch_execz .LBB2_226
	s_branch .LBB2_230
	.p2align	6
.LBB2_229:                              ;   in Loop: Header=BB2_227 Depth=3
	s_trap 2
	ds_read_b64 v[9:10], v0
	s_andn2_b32 s72, s72, exec_lo
	s_mov_b32 s63, 0
	s_waitcnt lgkmcnt(0)
	flat_load_dword v3, v[9:10] glc dlc
	s_waitcnt vmcnt(0) lgkmcnt(0)
	buffer_gl1_inv
	buffer_gl0_inv
	v_cmp_eq_u32_e32 vcc_lo, 0, v3
	s_and_b32 s73, vcc_lo, exec_lo
	s_or_b32 s72, s72, s73
	s_mov_b32 s74, -1
	s_or_b32 s62, s62, exec_lo
	s_and_saveexec_b32 s73, s72
	s_cbranch_execz .LBB2_226
.LBB2_230:                              ;   in Loop: Header=BB2_227 Depth=3
	s_sleep 1
	s_trap 2
	ds_read_b64 v[9:10], v0
	s_waitcnt lgkmcnt(0)
	buffer_gl0_inv
	s_andn2_b32 s62, s62, exec_lo
	v_cmp_ge_u64_e32 vcc_lo, v[9:10], v[12:13]
	s_orn2_b32 s74, vcc_lo, exec_lo
	s_branch .LBB2_226
.LBB2_231:                              ;   in Loop: Header=BB2_197 Depth=2
	s_inst_prefetch 0x2
	s_or_b32 exec_lo, exec_lo, s23
	s_and_saveexec_b32 s23, s61
	s_xor_b32 s23, exec_lo, s23
	s_cbranch_execz .LBB2_233
; %bb.232:                              ;   in Loop: Header=BB2_197 Depth=2
	ds_write_b32 v0, v86
	s_trap 2
.LBB2_233:                              ;   in Loop: Header=BB2_197 Depth=2
	s_or_b32 exec_lo, exec_lo, s22
	;;#ASMSTART
	s_wakeup
	;;#ASMEND
.LBB2_234:                              ;   in Loop: Header=BB2_197 Depth=2
	s_or_b32 exec_lo, exec_lo, s21
.LBB2_235:                              ;   in Loop: Header=BB2_197 Depth=2
	s_andn2_saveexec_b32 s19, s19
	s_cbranch_execz .LBB2_237
; %bb.236:                              ;   in Loop: Header=BB2_197 Depth=2
	s_waitcnt vmcnt(0) lgkmcnt(0)
	s_waitcnt_vscnt null, 0x0
	buffer_gl1_inv
	buffer_gl0_inv
	s_barrier
.LBB2_237:                              ;   in Loop: Header=BB2_197 Depth=2
	s_or_b32 exec_lo, exec_lo, s19
.LBB2_238:                              ;   in Loop: Header=BB2_197 Depth=2
	s_or_b32 exec_lo, exec_lo, s16
	v_and_b32_e32 v3, 16, v71
	s_and_saveexec_b32 s16, s15
	s_xor_b32 s19, exec_lo, s16
	s_cbranch_execz .LBB2_242
; %bb.239:                              ;   in Loop: Header=BB2_197 Depth=2
	s_trap 2
	ds_read_b32 v3, v0
	v_cmp_lt_i32_e32 vcc_lo, 0, v8
	s_waitcnt lgkmcnt(0)
	v_readfirstlane_b32 s16, v3
	v_and_b32_e32 v3, 16, v71
	s_cmp_eq_u32 s16, 0
	v_cmp_ne_u32_e64 s16, 0, v3
	s_cselect_b32 s21, -1, 0
	v_and_b32_e32 v3, 16, v71
	s_and_b32 s21, vcc_lo, s21
	s_and_b32 s21, s16, s21
	s_and_saveexec_b32 s16, s21
	s_cbranch_execz .LBB2_241
; %bb.240:                              ;   in Loop: Header=BB2_197 Depth=2
	v_mov_b32_e32 v3, 1
	s_waitcnt vmcnt(0)
	s_waitcnt_vscnt null, 0x0
	buffer_gl1_inv
	buffer_gl0_inv
.LBB2_241:                              ;   in Loop: Header=BB2_197 Depth=2
	s_or_b32 exec_lo, exec_lo, s16
.LBB2_242:                              ;   in Loop: Header=BB2_197 Depth=2
	s_andn2_saveexec_b32 s16, s19
	s_cbranch_execz .LBB2_261
; %bb.243:                              ;   in Loop: Header=BB2_197 Depth=2
	s_and_saveexec_b32 s19, s29
	s_xor_b32 s19, exec_lo, s19
	s_cbranch_execz .LBB2_258
; %bb.244:                              ;   in Loop: Header=BB2_197 Depth=2
	s_and_saveexec_b32 s21, s11
	s_cbranch_execz .LBB2_257
; %bb.245:                              ;   in Loop: Header=BB2_197 Depth=2
	s_mov_b32 s23, exec_lo
	s_mov_b32 s22, exec_lo
	v_mbcnt_lo_u32_b32 v9, s23, 0
	;;#ASMSTART
	s_waitcnt lgkmcnt(0) vmcnt(0)
	;;#ASMEND
	v_cmpx_eq_u32_e32 0, v9
	s_cbranch_execz .LBB2_247
; %bb.246:                              ;   in Loop: Header=BB2_197 Depth=2
	s_bcnt1_i32_b32 s23, s23
	v_mov_b32_e32 v10, v2
	v_mov_b32_e32 v9, s23
	s_waitcnt vmcnt(0) lgkmcnt(0)
	s_waitcnt_vscnt null, 0x0
	ds_add_u64 v0, v[9:10]
	s_trap 2
.LBB2_247:                              ;   in Loop: Header=BB2_197 Depth=2
	s_or_b32 exec_lo, exec_lo, s22
	s_trap 2
	ds_read_b64 v[9:10], v0
	s_waitcnt vmcnt(0) lgkmcnt(0)
	buffer_gl0_inv
	v_add_co_u32 v12, vcc_lo, v12, v81
	v_add_co_ci_u32_e64 v13, null, 0, v13, vcc_lo
	s_mov_b32 s22, exec_lo
	v_cmpx_lt_u64_e64 v[9:10], v[12:13]
	s_cbranch_execz .LBB2_256
; %bb.248:                              ;   in Loop: Header=BB2_197 Depth=2
	s_mov_b32 s23, 0
	s_mov_b32 s63, 0
                                        ; implicit-def: $sgpr61
                                        ; implicit-def: $sgpr62
	s_inst_prefetch 0x1
	s_branch .LBB2_250
	.p2align	6
.LBB2_249:                              ;   in Loop: Header=BB2_250 Depth=3
	s_or_b32 exec_lo, exec_lo, s73
	s_and_b32 s72, exec_lo, s74
	s_or_b32 s23, s72, s23
	s_andn2_b32 s61, s61, exec_lo
	s_and_b32 s72, s62, exec_lo
	s_or_b32 s61, s61, s72
	s_andn2_b32 exec_lo, exec_lo, s23
	s_cbranch_execz .LBB2_254
.LBB2_250:                              ;   Parent Loop BB2_47 Depth=1
                                        ;     Parent Loop BB2_197 Depth=2
                                        ; =>    This Inner Loop Header: Depth=3
	s_add_i32 s63, s63, 1
	s_cmpk_lg_i32 s63, 0x2710
	s_cselect_b32 s72, -1, 0
	s_and_b32 vcc_lo, exec_lo, s72
	s_cbranch_vccz .LBB2_252
; %bb.251:                              ;   in Loop: Header=BB2_250 Depth=3
	s_mov_b32 s74, -1
	s_or_b32 s62, s62, exec_lo
	s_and_saveexec_b32 s73, s72
	s_cbranch_execz .LBB2_249
	s_branch .LBB2_253
	.p2align	6
.LBB2_252:                              ;   in Loop: Header=BB2_250 Depth=3
	s_trap 2
	ds_read_b64 v[9:10], v0
	s_andn2_b32 s72, s72, exec_lo
	s_mov_b32 s63, 0
	s_waitcnt lgkmcnt(0)
	s_waitcnt_vscnt null, 0x0
	flat_load_dword v9, v[9:10] glc dlc
	s_waitcnt vmcnt(0) lgkmcnt(0)
	buffer_gl1_inv
	buffer_gl0_inv
	v_cmp_eq_u32_e32 vcc_lo, 0, v9
	s_and_b32 s73, vcc_lo, exec_lo
	s_or_b32 s72, s72, s73
	s_mov_b32 s74, -1
	s_or_b32 s62, s62, exec_lo
	s_and_saveexec_b32 s73, s72
	s_cbranch_execz .LBB2_249
.LBB2_253:                              ;   in Loop: Header=BB2_250 Depth=3
	s_sleep 1
	s_trap 2
	ds_read_b64 v[9:10], v0
	s_waitcnt lgkmcnt(0)
	buffer_gl0_inv
	s_andn2_b32 s62, s62, exec_lo
	v_cmp_ge_u64_e32 vcc_lo, v[9:10], v[12:13]
	s_orn2_b32 s74, vcc_lo, exec_lo
	s_branch .LBB2_249
.LBB2_254:                              ;   in Loop: Header=BB2_197 Depth=2
	s_inst_prefetch 0x2
	s_or_b32 exec_lo, exec_lo, s23
	s_and_saveexec_b32 s23, s61
	s_xor_b32 s23, exec_lo, s23
	s_cbranch_execz .LBB2_256
; %bb.255:                              ;   in Loop: Header=BB2_197 Depth=2
	ds_write_b32 v0, v86
	s_trap 2
.LBB2_256:                              ;   in Loop: Header=BB2_197 Depth=2
	s_or_b32 exec_lo, exec_lo, s22
	;;#ASMSTART
	s_wakeup
	;;#ASMEND
.LBB2_257:                              ;   in Loop: Header=BB2_197 Depth=2
	s_or_b32 exec_lo, exec_lo, s21
.LBB2_258:                              ;   in Loop: Header=BB2_197 Depth=2
	s_andn2_saveexec_b32 s19, s19
	s_cbranch_execz .LBB2_260
; %bb.259:                              ;   in Loop: Header=BB2_197 Depth=2
	;;#ASMSTART
	s_waitcnt lgkmcnt(0) vmcnt(0)
	;;#ASMEND
	s_barrier
.LBB2_260:                              ;   in Loop: Header=BB2_197 Depth=2
	s_or_b32 exec_lo, exec_lo, s19
.LBB2_261:                              ;   in Loop: Header=BB2_197 Depth=2
	s_or_b32 exec_lo, exec_lo, s16
	s_mov_b32 s16, exec_lo
	v_cmpx_ne_u32_e32 0, v3
	s_cbranch_execz .LBB2_196
; %bb.262:                              ;   in Loop: Header=BB2_197 Depth=2
	s_and_saveexec_b32 s19, s10
	s_cbranch_execz .LBB2_195
; %bb.263:                              ;   in Loop: Header=BB2_197 Depth=2
	s_waitcnt vmcnt(0) lgkmcnt(0)
	s_waitcnt_vscnt null, 0x0
	flat_store_dword v[24:25], v86
	s_branch .LBB2_195
.LBB2_264:                              ;   in Loop: Header=BB2_47 Depth=1
	s_or_b32 exec_lo, exec_lo, s18
.LBB2_265:                              ;   in Loop: Header=BB2_47 Depth=1
	s_or_b32 exec_lo, exec_lo, s17
	s_andn2_b32 vcc_lo, exec_lo, s46
	s_cbranch_vccnz .LBB2_488
; %bb.266:                              ;   in Loop: Header=BB2_47 Depth=1
	s_mov_b32 s18, 2
	s_branch .LBB2_269
.LBB2_267:                              ;   in Loop: Header=BB2_269 Depth=2
	s_or_b32 exec_lo, exec_lo, s19
.LBB2_268:                              ;   in Loop: Header=BB2_269 Depth=2
	s_or_b32 exec_lo, exec_lo, s17
	s_add_i32 s18, s18, 1
	s_cmp_eq_u32 s18, s25
	s_cbranch_scc1 .LBB2_488
.LBB2_269:                              ;   Parent Loop BB2_47 Depth=1
                                        ; =>  This Loop Header: Depth=2
                                        ;       Child Loop BB2_272 Depth 3
                                        ;         Child Loop BB2_280 Depth 4
                                        ;         Child Loop BB2_308 Depth 4
                                        ;         Child Loop BB2_327 Depth 4
                                        ;         Child Loop BB2_349 Depth 4
                                        ;         Child Loop BB2_354 Depth 4
                                        ;         Child Loop BB2_360 Depth 4
                                        ;         Child Loop BB2_365 Depth 4
                                        ;         Child Loop BB2_374 Depth 4
                                        ;         Child Loop BB2_397 Depth 4
                                        ;       Child Loop BB2_416 Depth 3
                                        ;         Child Loop BB2_422 Depth 4
                                        ;         Child Loop BB2_450 Depth 4
	;; [unrolled: 1-line block ×3, first 2 shown]
	s_sub_i32 s16, s42, s18
	v_mov_b32_e32 v69, 0
	s_cmp_ge_i32 s16, s25
	s_mov_b32 s21, 0
	s_cselect_b32 s17, s25, 0
	s_sub_i32 s16, s16, s17
	s_ashr_i32 s17, s16, 31
	v_mul_lo_u32 v3, v37, s16
	v_mad_u64_u32 v[10:11], null, v36, s16, 0
	v_mul_lo_u32 v8, v36, s17
	v_add3_u32 v11, v11, v8, v3
	v_sub_co_u32 v8, vcc_lo, v48, v10
	v_sub_co_ci_u32_e64 v9, null, v49, v11, vcc_lo
	v_cmp_lt_i64_e32 vcc_lo, v[36:37], v[8:9]
	v_cndmask_b32_e32 v8, v8, v36, vcc_lo
	v_max_i32_e32 v68, 0, v8
	v_cmp_lt_i32_e32 vcc_lo, 0, v8
	v_add_nc_u32_e32 v3, 31, v68
	s_and_b32 s16, s57, vcc_lo
	v_lshrrev_b32_e32 v3, 1, v3
	v_and_b32_e32 v9, 0x3ffffff0, v3
	v_mov_b32_e32 v3, 0
	v_max_i32_e32 v8, s45, v9
	s_and_saveexec_b32 s19, s16
	s_cbranch_execz .LBB2_413
; %bb.270:                              ;   in Loop: Header=BB2_269 Depth=2
	v_mov_b32_e32 v69, 0
	s_mov_b32 s23, 1
	s_mov_b32 s22, -1
	s_branch .LBB2_272
.LBB2_271:                              ;   in Loop: Header=BB2_272 Depth=3
	s_or_b32 exec_lo, exec_lo, s16
	v_add_nc_u32_e32 v69, v8, v69
	s_xor_b32 s16, s22, -1
	v_mov_b32_e32 v3, s23
	s_mov_b32 s22, 0
	s_mov_b32 s23, 2
	v_cmp_ge_i32_e32 vcc_lo, v69, v68
	s_or_b32 s16, s16, vcc_lo
	s_and_b32 s16, exec_lo, s16
	s_or_b32 s21, s16, s21
	s_andn2_b32 exec_lo, exec_lo, s21
	s_cbranch_execz .LBB2_412
.LBB2_272:                              ;   Parent Loop BB2_47 Depth=1
                                        ;     Parent Loop BB2_269 Depth=2
                                        ; =>    This Loop Header: Depth=3
                                        ;         Child Loop BB2_280 Depth 4
                                        ;         Child Loop BB2_308 Depth 4
	;; [unrolled: 1-line block ×9, first 2 shown]
	s_and_saveexec_b32 s16, s4
	s_cbranch_execz .LBB2_274
; %bb.273:                              ;   in Loop: Header=BB2_272 Depth=3
	s_trap 2
	ds_read_b64 v[50:51], v0
	s_waitcnt lgkmcnt(0)
	v_add_co_u32 v3, vcc_lo, v50, v116
	v_add_co_ci_u32_e64 v9, null, v51, v117, vcc_lo
	v_ashrrev_i32_e32 v51, 31, v69
	v_add_co_u32 v3, vcc_lo, v3, v10
	v_add_co_ci_u32_e64 v9, null, v9, v11, vcc_lo
	v_add_co_u32 v50, vcc_lo, v3, v69
	v_add_co_ci_u32_e64 v51, null, v9, v51, vcc_lo
	v_mov_b32_e32 v3, v2
	ds_write_b64 v0, v[50:51]
	ds_write_b64 v0, v[2:3]
.LBB2_274:                              ;   in Loop: Header=BB2_272 Depth=3
	s_or_b32 exec_lo, exec_lo, s16
	v_sub_nc_u32_e32 v3, v68, v69
	v_and_b32_e32 v9, 12, v71
	s_mov_b32 s17, exec_lo
	v_min_i32_e32 v8, v8, v3
	v_cmpx_ne_u32_e32 0, v9
	s_cbranch_execz .LBB2_300
; %bb.275:                              ;   in Loop: Header=BB2_272 Depth=3
	v_and_b32_e32 v3, 8, v71
	s_mov_b32 s61, exec_lo
	s_waitcnt vmcnt(0) lgkmcnt(1)
	v_add_co_u32 v52, vcc_lo, v26, v3
	v_add_co_ci_u32_e64 v53, null, 0, v27, vcc_lo
	v_add_co_u32 v50, vcc_lo, v38, 2
	v_add_co_ci_u32_e64 v51, null, 0, v39, vcc_lo
	v_cmpx_lt_u64_e64 v[52:53], v[50:51]
	s_cbranch_execz .LBB2_287
; %bb.276:                              ;   in Loop: Header=BB2_272 Depth=3
	v_and_b32_e32 v9, 64, v71
	s_mov_b32 s62, 0
	s_mov_b32 s74, 0
                                        ; implicit-def: $sgpr63
                                        ; implicit-def: $sgpr72
                                        ; implicit-def: $sgpr73
	v_cmp_eq_u32_e32 vcc_lo, 0, v9
	s_branch .LBB2_280
.LBB2_277:                              ;   in Loop: Header=BB2_280 Depth=4
	s_waitcnt vmcnt(0) lgkmcnt(0)
	v_add_co_u32 v52, s16, v26, v3
	v_add_co_ci_u32_e64 v53, null, 0, v27, s16
	s_or_b32 s77, s77, exec_lo
	v_cmp_ge_u64_e64 s16, v[52:53], v[50:51]
	s_orn2_b32 s76, s16, exec_lo
.LBB2_278:                              ;   in Loop: Header=BB2_280 Depth=4
	s_or_b32 exec_lo, exec_lo, s79
	s_andn2_b32 s16, s73, exec_lo
	s_and_b32 s73, s77, exec_lo
	s_andn2_b32 s72, s72, exec_lo
	s_and_b32 s76, s76, exec_lo
	s_or_b32 s73, s16, s73
	s_or_b32 s72, s72, s76
.LBB2_279:                              ;   in Loop: Header=BB2_280 Depth=4
	s_or_b32 exec_lo, exec_lo, s75
	s_and_b32 s16, exec_lo, s72
	s_or_b32 s62, s16, s62
	s_andn2_b32 s16, s63, exec_lo
	s_and_b32 s63, s73, exec_lo
	s_or_b32 s63, s16, s63
	s_andn2_b32 exec_lo, exec_lo, s62
	s_cbranch_execz .LBB2_284
.LBB2_280:                              ;   Parent Loop BB2_47 Depth=1
                                        ;     Parent Loop BB2_269 Depth=2
                                        ;       Parent Loop BB2_272 Depth=3
                                        ; =>      This Inner Loop Header: Depth=4
	s_sleep 1
	s_waitcnt vmcnt(0) lgkmcnt(0)
	flat_load_dwordx2 v[26:27], v[20:21] glc dlc
	s_or_b32 s73, s73, exec_lo
	s_or_b32 s72, s72, exec_lo
                                        ; implicit-def: $vgpr9
	s_and_saveexec_b32 s75, vcc_lo
	s_cbranch_execz .LBB2_279
; %bb.281:                              ;   in Loop: Header=BB2_280 Depth=4
	s_cmpk_lt_i32 s74, 0x270f
	s_mov_b32 s76, -1
	s_cselect_b32 s78, -1, 0
	s_cmpk_gt_i32 s74, 0x270e
	s_cbranch_scc0 .LBB2_283
; %bb.282:                              ;   in Loop: Header=BB2_280 Depth=4
	s_trap 2
	ds_read_b64 v[52:53], v0
	s_andn2_b32 s74, s78, exec_lo
	s_mov_b32 s77, 0
	s_waitcnt vmcnt(0) lgkmcnt(0)
	s_waitcnt_vscnt null, 0x0
	flat_load_dword v9, v[52:53] glc dlc
	s_waitcnt vmcnt(0) lgkmcnt(0)
	buffer_gl1_inv
	buffer_gl0_inv
	v_cmp_eq_u32_e64 s16, 0, v9
	s_and_b32 s16, s16, exec_lo
	s_or_b32 s78, s74, s16
	s_mov_b32 s74, 0
	s_and_saveexec_b32 s79, s78
	s_cbranch_execz .LBB2_278
	s_branch .LBB2_277
.LBB2_283:                              ;   in Loop: Header=BB2_280 Depth=4
	s_add_i32 s74, s74, 1
	s_mov_b32 s77, -1
                                        ; implicit-def: $vgpr9
	s_and_saveexec_b32 s79, s78
	s_cbranch_execz .LBB2_278
	s_branch .LBB2_277
.LBB2_284:                              ;   in Loop: Header=BB2_272 Depth=3
	s_or_b32 exec_lo, exec_lo, s62
	s_xor_b32 s16, s63, -1
	s_and_saveexec_b32 s62, s16
	s_xor_b32 s16, exec_lo, s62
	s_cbranch_execz .LBB2_286
; %bb.285:                              ;   in Loop: Header=BB2_272 Depth=3
	v_or_b32_e32 v71, 64, v71
	s_waitcnt vmcnt(0) lgkmcnt(0)
	s_waitcnt_vscnt null, 0x0
	ds_write_b32 v0, v9
	s_trap 2
.LBB2_286:                              ;   in Loop: Header=BB2_272 Depth=3
	s_or_b32 exec_lo, exec_lo, s16
.LBB2_287:                              ;   in Loop: Header=BB2_272 Depth=3
	s_or_b32 exec_lo, exec_lo, s61
	v_and_b32_e32 v9, 0x108, v71
	s_mov_b32 s16, exec_lo
	;;#ASMSTART
	s_wakeup
	;;#ASMEND
                                        ; implicit-def: $vgpr52_vgpr53
	v_cmpx_ne_u32_e32 0x108, v9
	s_xor_b32 s16, exec_lo, s16
; %bb.288:                              ;   in Loop: Header=BB2_272 Depth=3
	v_and_b32_e32 v52, 7, v38
	v_mov_b32_e32 v53, v2
                                        ; implicit-def: $vgpr38_vgpr39
; %bb.289:                              ;   in Loop: Header=BB2_272 Depth=3
	s_andn2_saveexec_b32 s16, s16
	s_cbranch_execz .LBB2_291
; %bb.290:                              ;   in Loop: Header=BB2_272 Depth=3
	v_and_b32_e32 v52, 7, v38
	v_ashrrev_i32_e32 v9, 31, v8
	v_mov_b32_e32 v53, v2
	v_mad_u64_u32 v[38:39], null, v52, 24, v[6:7]
	flat_store_dwordx2 v[38:39], v[8:9] offset:8
.LBB2_291:                              ;   in Loop: Header=BB2_272 Depth=3
	s_or_b32 exec_lo, exec_lo, s16
	v_and_b32_e32 v9, 0x100, v71
	s_mov_b32 s16, -1
	s_mov_b32 s61, exec_lo
                                        ; implicit-def: $vgpr38_vgpr39
	v_cmpx_ne_u32_e32 0, v9
	s_cbranch_execz .LBB2_295
; %bb.292:                              ;   in Loop: Header=BB2_272 Depth=3
	v_mad_u64_u32 v[54:55], null, v52, 24, v[6:7]
	s_mov_b32 s62, exec_lo
	v_mov_b32_e32 v9, v55
	v_mad_u64_u32 v[38:39], null, v53, 24, v[9:10]
	v_mov_b32_e32 v55, v38
                                        ; implicit-def: $vgpr38_vgpr39
	flat_load_dword v9, v[54:55]
	s_waitcnt vmcnt(0) lgkmcnt(0)
	v_cmp_ne_u32_e32 vcc_lo, 1, v9
	v_cmpx_eq_u32_e32 1, v9
	s_cbranch_execz .LBB2_294
; %bb.293:                              ;   in Loop: Header=BB2_272 Depth=3
	flat_load_dword v38, v[54:55] offset:4 glc dlc
	s_waitcnt vmcnt(0) lgkmcnt(0)
	v_ashrrev_i32_e32 v39, 31, v38
.LBB2_294:                              ;   in Loop: Header=BB2_272 Depth=3
	s_or_b32 exec_lo, exec_lo, s62
	s_orn2_b32 s16, vcc_lo, exec_lo
.LBB2_295:                              ;   in Loop: Header=BB2_272 Depth=3
	s_or_b32 exec_lo, exec_lo, s61
	s_and_saveexec_b32 s61, s16
; %bb.296:                              ;   in Loop: Header=BB2_272 Depth=3
	v_mul_lo_u32 v9, v53, v80
	v_mul_lo_u32 v53, v52, v30
	v_mad_u64_u32 v[38:39], null, v52, v80, 0
	v_add3_u32 v39, v39, v53, v9
; %bb.297:                              ;   in Loop: Header=BB2_272 Depth=3
	s_or_b32 exec_lo, exec_lo, s61
	v_cmp_eq_u32_e32 vcc_lo, 0, v3
	v_and_b32_e32 v9, 0x2000, v71
	s_mov_b32 s16, exec_lo
	v_cndmask_b32_e32 v3, 0xc8, v87, vcc_lo
	v_add_co_u32 v38, vcc_lo, v22, v38
	v_add_co_ci_u32_e64 v39, null, v23, v39, vcc_lo
	v_add_nc_u32_e32 v3, v0, v3
	ds_write_b64 v3, v[38:39] offset:584
	v_cmpx_ne_u32_e32 0, v9
	s_cbranch_execz .LBB2_299
; %bb.298:                              ;   in Loop: Header=BB2_272 Depth=3
	ds_read_b64 v[38:39], v0 offset:872
	s_waitcnt lgkmcnt(0)
	v_add_co_u32 v38, vcc_lo, v38, 1
	v_add_co_ci_u32_e64 v39, null, 0, v39, vcc_lo
	ds_write_b64 v0, v[38:39] offset:872
.LBB2_299:                              ;   in Loop: Header=BB2_272 Depth=3
	s_or_b32 exec_lo, exec_lo, s16
	v_mov_b32_e32 v38, v50
	v_mov_b32_e32 v39, v51
.LBB2_300:                              ;   in Loop: Header=BB2_272 Depth=3
	s_or_b32 exec_lo, exec_lo, s17
	s_and_saveexec_b32 s16, s6
	s_cbranch_execz .LBB2_319
; %bb.301:                              ;   in Loop: Header=BB2_272 Depth=3
	s_and_saveexec_b32 s17, s29
	s_xor_b32 s17, exec_lo, s17
	s_cbranch_execz .LBB2_316
; %bb.302:                              ;   in Loop: Header=BB2_272 Depth=3
	s_and_saveexec_b32 s61, s11
	s_cbranch_execz .LBB2_315
; %bb.303:                              ;   in Loop: Header=BB2_272 Depth=3
	s_mov_b32 s63, exec_lo
	s_mov_b32 s62, exec_lo
	v_mbcnt_lo_u32_b32 v3, s63, 0
	s_waitcnt vmcnt(0) lgkmcnt(0)
	s_waitcnt_vscnt null, 0x0
	buffer_gl1_inv
	buffer_gl0_inv
	v_cmpx_eq_u32_e32 0, v3
	s_cbranch_execz .LBB2_305
; %bb.304:                              ;   in Loop: Header=BB2_272 Depth=3
	s_bcnt1_i32_b32 s63, s63
	v_mov_b32_e32 v51, v2
	v_mov_b32_e32 v50, s63
	ds_add_u64 v0, v[50:51]
	s_trap 2
.LBB2_305:                              ;   in Loop: Header=BB2_272 Depth=3
	s_or_b32 exec_lo, exec_lo, s62
	s_trap 2
	ds_read_b64 v[50:51], v0
	s_waitcnt lgkmcnt(0)
	buffer_gl0_inv
	v_add_co_u32 v12, vcc_lo, v12, v81
	v_add_co_ci_u32_e64 v13, null, 0, v13, vcc_lo
	s_mov_b32 s62, exec_lo
	v_cmpx_lt_u64_e64 v[50:51], v[12:13]
	s_cbranch_execz .LBB2_314
; %bb.306:                              ;   in Loop: Header=BB2_272 Depth=3
	s_mov_b32 s63, 0
	s_mov_b32 s74, 0
                                        ; implicit-def: $sgpr72
                                        ; implicit-def: $sgpr73
	s_inst_prefetch 0x1
	s_branch .LBB2_308
	.p2align	6
.LBB2_307:                              ;   in Loop: Header=BB2_308 Depth=4
	s_or_b32 exec_lo, exec_lo, s76
	s_and_b32 s75, exec_lo, s77
	s_or_b32 s63, s75, s63
	s_andn2_b32 s72, s72, exec_lo
	s_and_b32 s75, s73, exec_lo
	s_or_b32 s72, s72, s75
	s_andn2_b32 exec_lo, exec_lo, s63
	s_cbranch_execz .LBB2_312
.LBB2_308:                              ;   Parent Loop BB2_47 Depth=1
                                        ;     Parent Loop BB2_269 Depth=2
                                        ;       Parent Loop BB2_272 Depth=3
                                        ; =>      This Inner Loop Header: Depth=4
	s_add_i32 s74, s74, 1
	s_cmpk_lg_i32 s74, 0x2710
	s_cselect_b32 s75, -1, 0
	s_and_b32 vcc_lo, exec_lo, s75
	s_cbranch_vccz .LBB2_310
; %bb.309:                              ;   in Loop: Header=BB2_308 Depth=4
	s_mov_b32 s77, -1
	s_or_b32 s73, s73, exec_lo
	s_and_saveexec_b32 s76, s75
	s_cbranch_execz .LBB2_307
	s_branch .LBB2_311
	.p2align	6
.LBB2_310:                              ;   in Loop: Header=BB2_308 Depth=4
	s_trap 2
	ds_read_b64 v[50:51], v0
	s_andn2_b32 s75, s75, exec_lo
	s_mov_b32 s74, 0
	s_waitcnt lgkmcnt(0)
	flat_load_dword v3, v[50:51] glc dlc
	s_waitcnt vmcnt(0) lgkmcnt(0)
	buffer_gl1_inv
	buffer_gl0_inv
	v_cmp_eq_u32_e32 vcc_lo, 0, v3
	s_and_b32 s76, vcc_lo, exec_lo
	s_or_b32 s75, s75, s76
	s_mov_b32 s77, -1
	s_or_b32 s73, s73, exec_lo
	s_and_saveexec_b32 s76, s75
	s_cbranch_execz .LBB2_307
.LBB2_311:                              ;   in Loop: Header=BB2_308 Depth=4
	s_sleep 1
	s_trap 2
	ds_read_b64 v[50:51], v0
	s_waitcnt lgkmcnt(0)
	buffer_gl0_inv
	s_andn2_b32 s73, s73, exec_lo
	v_cmp_ge_u64_e32 vcc_lo, v[50:51], v[12:13]
	s_orn2_b32 s77, vcc_lo, exec_lo
	s_branch .LBB2_307
.LBB2_312:                              ;   in Loop: Header=BB2_272 Depth=3
	s_inst_prefetch 0x2
	s_or_b32 exec_lo, exec_lo, s63
	s_and_saveexec_b32 s63, s72
	s_xor_b32 s63, exec_lo, s63
	s_cbranch_execz .LBB2_314
; %bb.313:                              ;   in Loop: Header=BB2_272 Depth=3
	ds_write_b32 v0, v86
	s_trap 2
.LBB2_314:                              ;   in Loop: Header=BB2_272 Depth=3
	s_or_b32 exec_lo, exec_lo, s62
	;;#ASMSTART
	s_wakeup
	;;#ASMEND
.LBB2_315:                              ;   in Loop: Header=BB2_272 Depth=3
	s_or_b32 exec_lo, exec_lo, s61
.LBB2_316:                              ;   in Loop: Header=BB2_272 Depth=3
	s_andn2_saveexec_b32 s17, s17
	s_cbranch_execz .LBB2_318
; %bb.317:                              ;   in Loop: Header=BB2_272 Depth=3
	s_waitcnt vmcnt(0) lgkmcnt(0)
	s_waitcnt_vscnt null, 0x0
	buffer_gl1_inv
	buffer_gl0_inv
	s_barrier
.LBB2_318:                              ;   in Loop: Header=BB2_272 Depth=3
	s_or_b32 exec_lo, exec_lo, s17
.LBB2_319:                              ;   in Loop: Header=BB2_272 Depth=3
	s_or_b32 exec_lo, exec_lo, s16
	s_trap 2
	ds_read_b32 v3, v0
	v_and_b32_e32 v9, 0x4000, v71
	s_xor_b32 s16, s5, -1
	v_cmp_ne_u32_e32 vcc_lo, 0, v9
	s_and_b32 s17, s16, vcc_lo
	s_and_saveexec_b32 s16, s17
	s_cbranch_execz .LBB2_338
; %bb.320:                              ;   in Loop: Header=BB2_272 Depth=3
	s_and_saveexec_b32 s17, s29
	s_xor_b32 s17, exec_lo, s17
	s_cbranch_execz .LBB2_335
; %bb.321:                              ;   in Loop: Header=BB2_272 Depth=3
	s_and_saveexec_b32 s61, s11
	s_cbranch_execz .LBB2_334
; %bb.322:                              ;   in Loop: Header=BB2_272 Depth=3
	s_mov_b32 s63, exec_lo
	s_mov_b32 s62, exec_lo
	v_mbcnt_lo_u32_b32 v9, s63, 0
	s_waitcnt vmcnt(0) lgkmcnt(0)
	s_waitcnt_vscnt null, 0x0
	buffer_gl1_inv
	buffer_gl0_inv
	v_cmpx_eq_u32_e32 0, v9
	s_cbranch_execz .LBB2_324
; %bb.323:                              ;   in Loop: Header=BB2_272 Depth=3
	s_bcnt1_i32_b32 s63, s63
	v_mov_b32_e32 v51, v2
	v_mov_b32_e32 v50, s63
	ds_add_u64 v0, v[50:51]
	s_trap 2
.LBB2_324:                              ;   in Loop: Header=BB2_272 Depth=3
	s_or_b32 exec_lo, exec_lo, s62
	s_trap 2
	ds_read_b64 v[50:51], v0
	s_waitcnt lgkmcnt(0)
	buffer_gl0_inv
	v_add_co_u32 v12, vcc_lo, v12, v81
	v_add_co_ci_u32_e64 v13, null, 0, v13, vcc_lo
	s_mov_b32 s62, exec_lo
	v_cmpx_lt_u64_e64 v[50:51], v[12:13]
	s_cbranch_execz .LBB2_333
; %bb.325:                              ;   in Loop: Header=BB2_272 Depth=3
	s_mov_b32 s63, 0
	s_mov_b32 s74, 0
                                        ; implicit-def: $sgpr72
                                        ; implicit-def: $sgpr73
	s_inst_prefetch 0x1
	s_branch .LBB2_327
	.p2align	6
.LBB2_326:                              ;   in Loop: Header=BB2_327 Depth=4
	s_or_b32 exec_lo, exec_lo, s76
	s_and_b32 s75, exec_lo, s77
	s_or_b32 s63, s75, s63
	s_andn2_b32 s72, s72, exec_lo
	s_and_b32 s75, s73, exec_lo
	s_or_b32 s72, s72, s75
	s_andn2_b32 exec_lo, exec_lo, s63
	s_cbranch_execz .LBB2_331
.LBB2_327:                              ;   Parent Loop BB2_47 Depth=1
                                        ;     Parent Loop BB2_269 Depth=2
                                        ;       Parent Loop BB2_272 Depth=3
                                        ; =>      This Inner Loop Header: Depth=4
	s_add_i32 s74, s74, 1
	s_cmpk_lg_i32 s74, 0x2710
	s_cselect_b32 s75, -1, 0
	s_and_b32 vcc_lo, exec_lo, s75
	s_cbranch_vccz .LBB2_329
; %bb.328:                              ;   in Loop: Header=BB2_327 Depth=4
	s_mov_b32 s77, -1
	s_or_b32 s73, s73, exec_lo
	s_and_saveexec_b32 s76, s75
	s_cbranch_execz .LBB2_326
	s_branch .LBB2_330
	.p2align	6
.LBB2_329:                              ;   in Loop: Header=BB2_327 Depth=4
	s_trap 2
	ds_read_b64 v[50:51], v0
	s_andn2_b32 s75, s75, exec_lo
	s_mov_b32 s74, 0
	s_waitcnt lgkmcnt(0)
	flat_load_dword v9, v[50:51] glc dlc
	s_waitcnt vmcnt(0) lgkmcnt(0)
	buffer_gl1_inv
	buffer_gl0_inv
	v_cmp_eq_u32_e32 vcc_lo, 0, v9
	s_and_b32 s76, vcc_lo, exec_lo
	s_or_b32 s75, s75, s76
	s_mov_b32 s77, -1
	s_or_b32 s73, s73, exec_lo
	s_and_saveexec_b32 s76, s75
	s_cbranch_execz .LBB2_326
.LBB2_330:                              ;   in Loop: Header=BB2_327 Depth=4
	s_sleep 1
	s_trap 2
	ds_read_b64 v[50:51], v0
	s_waitcnt lgkmcnt(0)
	buffer_gl0_inv
	s_andn2_b32 s73, s73, exec_lo
	v_cmp_ge_u64_e32 vcc_lo, v[50:51], v[12:13]
	s_orn2_b32 s77, vcc_lo, exec_lo
	s_branch .LBB2_326
.LBB2_331:                              ;   in Loop: Header=BB2_272 Depth=3
	s_inst_prefetch 0x2
	s_or_b32 exec_lo, exec_lo, s63
	s_and_saveexec_b32 s63, s72
	s_xor_b32 s63, exec_lo, s63
	s_cbranch_execz .LBB2_333
; %bb.332:                              ;   in Loop: Header=BB2_272 Depth=3
	ds_write_b32 v0, v86
	s_trap 2
.LBB2_333:                              ;   in Loop: Header=BB2_272 Depth=3
	s_or_b32 exec_lo, exec_lo, s62
	;;#ASMSTART
	s_wakeup
	;;#ASMEND
.LBB2_334:                              ;   in Loop: Header=BB2_272 Depth=3
	s_or_b32 exec_lo, exec_lo, s61
.LBB2_335:                              ;   in Loop: Header=BB2_272 Depth=3
	s_andn2_saveexec_b32 s17, s17
	s_cbranch_execz .LBB2_337
; %bb.336:                              ;   in Loop: Header=BB2_272 Depth=3
	s_waitcnt vmcnt(0) lgkmcnt(0)
	s_waitcnt_vscnt null, 0x0
	buffer_gl1_inv
	buffer_gl0_inv
	s_barrier
.LBB2_337:                              ;   in Loop: Header=BB2_272 Depth=3
	s_or_b32 exec_lo, exec_lo, s17
.LBB2_338:                              ;   in Loop: Header=BB2_272 Depth=3
	s_or_b32 exec_lo, exec_lo, s16
	s_trap 2
	ds_read_b64 v[50:51], v0
	s_waitcnt lgkmcnt(0)
	v_cmp_eq_u64_e32 vcc_lo, 0, v[50:51]
	s_cbranch_vccnz .LBB2_346
; %bb.339:                              ;   in Loop: Header=BB2_272 Depth=3
	s_trap 2
	ds_read_b64 v[52:53], v0
	s_waitcnt lgkmcnt(0)
	v_cmp_eq_u64_e32 vcc_lo, 0, v[52:53]
	s_cbranch_vccnz .LBB2_346
; %bb.340:                              ;   in Loop: Header=BB2_272 Depth=3
	s_trap 2
	ds_read_b64 v[54:55], v0
	s_mov_b32 s16, -1
	s_waitcnt lgkmcnt(0)
	v_readfirstlane_b32 s61, v54
	s_and_saveexec_b32 s17, s14
	s_cbranch_execz .LBB2_342
; %bb.341:                              ;   in Loop: Header=BB2_272 Depth=3
	ds_read_b32 v9, v0 offset:720
	s_waitcnt lgkmcnt(0)
	v_and_b32_e32 v9, 15, v9
	v_cmp_eq_u32_e32 vcc_lo, 0, v9
	s_orn2_b32 s16, vcc_lo, exec_lo
.LBB2_342:                              ;   in Loop: Header=BB2_272 Depth=3
	s_or_b32 exec_lo, exec_lo, s17
	s_and_saveexec_b32 s17, s13
	s_cbranch_execz .LBB2_344
; %bb.343:                              ;   in Loop: Header=BB2_272 Depth=3
	ds_read_b32 v9, v0 offset:784
	s_waitcnt lgkmcnt(0)
	v_and_b32_e32 v9, 15, v9
	v_cmp_eq_u32_e32 vcc_lo, 0, v9
	s_and_b32 s62, s16, vcc_lo
	s_andn2_b32 s16, s16, exec_lo
	s_and_b32 s62, s62, exec_lo
	s_or_b32 s16, s16, s62
.LBB2_344:                              ;   in Loop: Header=BB2_272 Depth=3
	s_or_b32 exec_lo, exec_lo, s17
	v_cmp_eq_u32_e32 vcc_lo, 0, v3
	s_xor_b32 s16, s16, -1
	v_mov_b32_e32 v65, v0
	v_cndmask_b32_e64 v9, 0, 1, s16
	s_mov_b32 s63, -1
	v_cndmask_b32_e32 v3, 0, v8, vcc_lo
	v_cmp_ne_u32_e32 vcc_lo, 0, v9
	v_mov_b32_e32 v9, 0
	v_mov_b32_e32 v64, v3
	s_cbranch_vccz .LBB2_347
; %bb.345:                              ;   in Loop: Header=BB2_272 Depth=3
	s_and_saveexec_b32 s17, s63
	s_cbranch_execnz .LBB2_358
	s_branch .LBB2_366
.LBB2_346:                              ;   in Loop: Header=BB2_272 Depth=3
	s_mov_b32 s16, 0
	s_and_saveexec_b32 s17, s6
	s_cbranch_execnz .LBB2_367
	s_branch .LBB2_385
.LBB2_347:                              ;   in Loop: Header=BB2_272 Depth=3
	v_ashrrev_i32_e32 v9, 31, v3
	s_mov_b32 s62, exec_lo
	v_lshrrev_b32_e32 v9, 23, v9
	v_add_nc_u32_e32 v9, v3, v9
	v_and_b32_e32 v118, 0xfffffe00, v9
	v_ashrrev_i32_e32 v9, 9, v9
	v_sub_nc_u32_e32 v40, v3, v118
	v_sub_nc_u32_e32 v54, v9, v83
	;; [unrolled: 1-line block ×3, first 2 shown]
	v_cmp_lt_i32_e32 vcc_lo, 15, v40
	v_add_co_ci_u32_e64 v41, null, 0, v54, vcc_lo
	v_cmpx_lt_i32_e32 15, v9
	s_cbranch_execz .LBB2_351
; %bb.348:                              ;   in Loop: Header=BB2_272 Depth=3
	s_trap 2
	ds_read_b64 v[66:67], v0
	v_add_co_u32 v54, s16, v50, v85
	v_add_co_ci_u32_e64 v55, null, 0, v51, s16
	v_add_co_u32 v64, s16, v52, v85
	v_add_co_ci_u32_e64 v65, null, 0, v53, s16
	s_and_b32 s72, s61, 0xff
	s_mov_b32 s63, 0
	s_mul_i32 s72, s72, 0x1010101
	s_waitcnt lgkmcnt(0)
	v_add_co_u32 v66, s16, v66, v85
	v_add_co_ci_u32_e64 v67, null, 0, v67, s16
.LBB2_349:                              ;   Parent Loop BB2_47 Depth=1
                                        ;     Parent Loop BB2_269 Depth=2
                                        ;       Parent Loop BB2_272 Depth=3
                                        ; =>      This Inner Loop Header: Depth=4
	global_load_dwordx4 v[42:45], v[66:67], off slc
	global_load_dwordx4 v[56:59], v[54:55], off slc
	v_sub_nc_u32_e32 v9, v9, v98
	v_add_co_u32 v54, s16, v54, v98
	v_add_co_ci_u32_e64 v55, null, 0, v55, s16
	v_add_co_u32 v66, s16, v66, v98
	v_add_co_ci_u32_e64 v67, null, 0, v67, s16
	v_cmp_gt_i32_e64 s16, 16, v9
	v_sub_nc_u32_e32 v41, v41, v81
	s_or_b32 s63, s16, s63
	s_waitcnt vmcnt(1)
	v_xor3_b32 v119, s72, -1, v42
	v_xnor_b32_e32 v46, s72, v43
	v_xnor_b32_e32 v47, s72, v44
	;; [unrolled: 1-line block ×3, first 2 shown]
	s_waitcnt vmcnt(0)
	v_xor_b32_e32 v61, s72, v56
	v_xor_b32_e32 v62, s72, v57
	;; [unrolled: 1-line block ×4, first 2 shown]
	v_and_b32_e32 v73, 0xff00ff, v119
	v_lshrrev_b32_e32 v119, 8, v119
	v_and_b32_e32 v74, 0xff00ff, v46
	v_lshrrev_b32_e32 v46, 8, v46
	;; [unrolled: 2-line block ×3, first 2 shown]
	v_and_b32_e32 v76, 0xff00ff, v60
	v_and_b32_e32 v77, 0xff00ff, v61
	v_lshrrev_b32_e32 v61, 8, v61
	v_and_b32_e32 v78, 0xff00ff, v62
	v_lshrrev_b32_e32 v62, 8, v62
	;; [unrolled: 2-line block ×4, first 2 shown]
	v_lshrrev_b32_e32 v72, 8, v72
	v_and_b32_e32 v119, 0xff00ff, v119
	v_and_b32_e32 v46, 0xff00ff, v46
	;; [unrolled: 1-line block ×3, first 2 shown]
	v_add3_u32 v73, v77, v73, 0x1010101
	v_and_b32_e32 v61, 0xff00ff, v61
	v_add3_u32 v74, v78, v74, 0x1010101
	v_and_b32_e32 v62, 0xff00ff, v62
	;; [unrolled: 2-line block ×4, first 2 shown]
	v_and_b32_e32 v72, 0xff00ff, v72
	v_add3_u32 v119, v61, v119, 0x1010101
	v_lshrrev_b32_e32 v61, 8, v73
	v_add3_u32 v46, v62, v46, 0x1010101
	v_lshrrev_b32_e32 v62, 8, v74
	;; [unrolled: 2-line block ×3, first 2 shown]
	v_lshrrev_b32_e32 v73, 8, v76
	v_add3_u32 v60, v72, v60, 0x1010101
	v_and_b32_e32 v61, 0x10001, v61
	v_and_b32_e32 v62, 0x10001, v62
	;; [unrolled: 1-line block ×4, first 2 shown]
	v_and_or_b32 v119, 0x1000100, v119, v61
	v_and_or_b32 v46, 0x1000100, v46, v62
	;; [unrolled: 1-line block ×4, first 2 shown]
	v_mul_lo_u32 v119, 0xff, v119
	v_mul_lo_u32 v46, 0xff, v46
	;; [unrolled: 1-line block ×4, first 2 shown]
	v_bfi_b32 v42, v119, v56, v42
	v_bfi_b32 v43, v46, v57, v43
	;; [unrolled: 1-line block ×4, first 2 shown]
	global_store_dwordx4 v[64:65], v[42:45], off glc slc
	v_add_co_u32 v64, s17, v64, v98
	v_add_co_ci_u32_e64 v65, null, 0, v65, s17
	s_andn2_b32 exec_lo, exec_lo, s63
	s_cbranch_execnz .LBB2_349
; %bb.350:                              ;   in Loop: Header=BB2_272 Depth=3
	s_or_b32 exec_lo, exec_lo, s63
.LBB2_351:                              ;   in Loop: Header=BB2_272 Depth=3
	s_or_b32 exec_lo, exec_lo, s62
	v_and_b32_e32 v54, 15, v3
	v_mov_b32_e32 v9, 0
	s_mov_b32 s63, 0
	s_mov_b32 s62, exec_lo
                                        ; implicit-def: $vgpr64
                                        ; implicit-def: $vgpr65
	v_cndmask_b32_e32 v119, v40, v54, vcc_lo
	v_cmpx_ne_u32_e32 0, v119
	s_cbranch_execz .LBB2_357
; %bb.352:                              ;   in Loop: Header=BB2_272 Depth=3
	v_cmp_lt_i32_e64 s16, 0, v41
	v_ashrrev_i32_e32 v64, 31, v119
	v_sub_nc_u32_e32 v66, v40, v54
	s_mov_b32 s63, exec_lo
	v_cndmask_b32_e64 v9, 0, v81, s16
	v_lshrrev_b32_e32 v64, 23, v64
	v_sub_nc_u32_e32 v9, v9, v41
	v_add_nc_u32_e32 v64, v119, v64
	v_lshl_or_b32 v9, v9, 5, v82
	v_ashrrev_i32_e32 v55, 31, v9
	v_lshrrev_b32_e32 v55, 27, v55
	v_add_nc_u32_e32 v55, v9, v55
	v_and_b32_e32 v65, 0xffffffe0, v55
	v_ashrrev_i32_e32 v55, 5, v55
	v_sub_nc_u32_e32 v41, v9, v65
	v_and_b32_e32 v9, 0xfffffe00, v64
	v_ashrrev_i32_e32 v64, 9, v64
	v_lshlrev_b32_e32 v65, 4, v41
	v_sub_nc_u32_e32 v40, v119, v9
	v_lshl_add_u32 v54, v55, 9, v65
	v_cndmask_b32_e32 v65, 0, v66, vcc_lo
	v_cmp_lt_i32_e32 vcc_lo, 15, v40
	v_sub_nc_u32_e32 v43, v119, v54
	v_add_nc_u32_e32 v118, v65, v118
	v_add_co_ci_u32_e64 v64, null, 0, v64, vcc_lo
	v_sub_nc_u32_e32 v42, v64, v55
	v_cmpx_lt_i32_e32 15, v43
	s_cbranch_execz .LBB2_356
; %bb.353:                              ;   in Loop: Header=BB2_272 Depth=3
	s_trap 2
	ds_read_b64 v[66:67], v0
	v_add_nc_u32_e32 v44, v54, v118
	s_and_b32 s73, s61, 0xff
	s_mov_b32 s72, 0
	s_mul_i32 s73, s73, 0x1010101
	v_ashrrev_i32_e32 v45, 31, v44
	v_add_co_u32 v54, s16, v44, v50
	v_add_co_ci_u32_e64 v55, null, v45, v51, s16
	v_add_co_u32 v64, s16, v44, v52
	v_add_co_ci_u32_e64 v65, null, v45, v53, s16
	s_waitcnt lgkmcnt(0)
	v_add_co_u32 v66, s16, v66, v44
	v_add_co_ci_u32_e64 v67, null, v67, v45, s16
.LBB2_354:                              ;   Parent Loop BB2_47 Depth=1
                                        ;     Parent Loop BB2_269 Depth=2
                                        ;       Parent Loop BB2_272 Depth=3
                                        ; =>      This Inner Loop Header: Depth=4
	global_load_dwordx4 v[44:47], v[66:67], off slc
	global_load_dwordx4 v[56:59], v[54:55], off slc
	v_sub_nc_u32_e32 v43, v43, v98
	v_add_co_u32 v54, s16, v54, v98
	v_add_co_ci_u32_e64 v55, null, 0, v55, s16
	v_add_co_u32 v66, s16, v66, v98
	v_add_co_ci_u32_e64 v67, null, 0, v67, s16
	v_cmp_gt_i32_e64 s16, 16, v43
	v_sub_nc_u32_e32 v42, v42, v81
	s_or_b32 s72, s16, s72
	s_waitcnt vmcnt(1)
	v_xor3_b32 v60, s73, -1, v44
	v_xnor_b32_e32 v61, s73, v45
	v_xnor_b32_e32 v62, s73, v46
	;; [unrolled: 1-line block ×3, first 2 shown]
	s_waitcnt vmcnt(0)
	v_xor_b32_e32 v72, s73, v56
	v_xor_b32_e32 v73, s73, v57
	;; [unrolled: 1-line block ×4, first 2 shown]
	v_and_b32_e32 v76, 0xff00ff, v60
	v_lshrrev_b32_e32 v60, 8, v60
	v_and_b32_e32 v77, 0xff00ff, v61
	v_lshrrev_b32_e32 v61, 8, v61
	;; [unrolled: 2-line block ×3, first 2 shown]
	v_and_b32_e32 v79, 0xff00ff, v63
	v_and_b32_e32 v88, 0xff00ff, v72
	v_lshrrev_b32_e32 v72, 8, v72
	v_and_b32_e32 v89, 0xff00ff, v73
	v_lshrrev_b32_e32 v73, 8, v73
	;; [unrolled: 2-line block ×4, first 2 shown]
	v_lshrrev_b32_e32 v75, 8, v75
	v_and_b32_e32 v60, 0xff00ff, v60
	v_and_b32_e32 v61, 0xff00ff, v61
	;; [unrolled: 1-line block ×3, first 2 shown]
	v_add3_u32 v76, v88, v76, 0x1010101
	v_and_b32_e32 v72, 0xff00ff, v72
	v_add3_u32 v77, v89, v77, 0x1010101
	v_and_b32_e32 v73, 0xff00ff, v73
	;; [unrolled: 2-line block ×4, first 2 shown]
	v_and_b32_e32 v75, 0xff00ff, v75
	v_add3_u32 v60, v72, v60, 0x1010101
	v_lshrrev_b32_e32 v72, 8, v76
	v_add3_u32 v61, v73, v61, 0x1010101
	v_lshrrev_b32_e32 v73, 8, v77
	v_add3_u32 v62, v74, v62, 0x1010101
	v_lshrrev_b32_e32 v74, 8, v78
	v_lshrrev_b32_e32 v76, 8, v79
	v_add3_u32 v63, v75, v63, 0x1010101
	v_and_b32_e32 v72, 0x10001, v72
	v_and_b32_e32 v73, 0x10001, v73
	;; [unrolled: 1-line block ×4, first 2 shown]
	v_and_or_b32 v60, 0x1000100, v60, v72
	v_and_or_b32 v61, 0x1000100, v61, v73
	;; [unrolled: 1-line block ×4, first 2 shown]
	v_mul_lo_u32 v60, 0xff, v60
	v_mul_lo_u32 v61, 0xff, v61
	;; [unrolled: 1-line block ×4, first 2 shown]
	v_bfi_b32 v44, v60, v56, v44
	v_bfi_b32 v45, v61, v57, v45
	;; [unrolled: 1-line block ×4, first 2 shown]
	global_store_dwordx4 v[64:65], v[44:47], off glc slc
	v_add_co_u32 v64, s17, v64, v98
	v_add_co_ci_u32_e64 v65, null, 0, v65, s17
	s_andn2_b32 exec_lo, exec_lo, s72
	s_cbranch_execnz .LBB2_354
; %bb.355:                              ;   in Loop: Header=BB2_272 Depth=3
	s_or_b32 exec_lo, exec_lo, s72
.LBB2_356:                              ;   in Loop: Header=BB2_272 Depth=3
	s_or_b32 exec_lo, exec_lo, s63
	v_and_b32_e32 v54, 15, v119
	v_cmp_lt_i32_e64 s16, 0, v42
	v_sub_nc_u32_e32 v55, v40, v54
	v_cndmask_b32_e64 v65, 0, v81, s16
	v_cndmask_b32_e32 v64, v40, v54, vcc_lo
	v_cndmask_b32_e32 v54, 0, v55, vcc_lo
	v_sub_nc_u32_e32 v55, v65, v42
	v_cmp_ne_u32_e32 vcc_lo, 0, v64
	v_add3_u32 v9, v9, v118, v54
	v_lshl_add_u32 v65, v55, 5, v41
	s_and_b32 s63, vcc_lo, exec_lo
.LBB2_357:                              ;   in Loop: Header=BB2_272 Depth=3
	s_or_b32 exec_lo, exec_lo, s62
	s_and_saveexec_b32 s17, s63
	s_cbranch_execz .LBB2_366
.LBB2_358:                              ;   in Loop: Header=BB2_272 Depth=3
	v_ashrrev_i32_e32 v54, 31, v65
	v_ashrrev_i32_e32 v55, 31, v64
	s_mov_b32 s62, exec_lo
	v_lshrrev_b32_e32 v54, 27, v54
	v_add_nc_u32_sdwa v55, v64, v55 dst_sel:DWORD dst_unused:UNUSED_PAD src0_sel:DWORD src1_sel:BYTE_3
	v_add_nc_u32_e32 v54, v65, v54
	v_ashrrev_i32_e32 v118, 8, v55
	v_ashrrev_i32_e32 v66, 5, v54
	v_sub_nc_u32_e32 v67, v118, v66
	v_cmpx_lt_i32_e32 0, v67
	s_cbranch_execz .LBB2_362
; %bb.359:                              ;   in Loop: Header=BB2_272 Depth=3
	v_and_b32_e32 v119, 0xffffffe0, v54
	s_trap 2
	ds_read_b64 v[54:55], v0
	v_lshlrev_b32_e32 v40, 8, v66
	v_add_co_u32 v41, vcc_lo, 0xe0, v52
	v_sub_nc_u32_e32 v119, v65, v119
	v_add_co_ci_u32_e64 v42, null, 0, v53, vcc_lo
	s_and_b32 s63, s61, 0xff
	s_mov_b32 s72, 0
	v_add3_u32 v119, v9, v119, v40
	v_ashrrev_i32_e32 v40, 31, v119
	v_add_co_u32 v50, vcc_lo, v119, v50
	v_add_co_ci_u32_e64 v51, null, v40, v51, vcc_lo
	s_waitcnt lgkmcnt(0)
	v_add_co_u32 v52, vcc_lo, v54, v119
	v_add_co_ci_u32_e64 v53, null, v55, v40, vcc_lo
	v_add_co_u32 v54, vcc_lo, v41, v119
	v_add_co_ci_u32_e64 v55, null, v42, v40, vcc_lo
.LBB2_360:                              ;   Parent Loop BB2_47 Depth=1
                                        ;     Parent Loop BB2_269 Depth=2
                                        ;       Parent Loop BB2_272 Depth=3
                                        ; =>      This Inner Loop Header: Depth=4
	flat_load_ubyte v119, v[50:51] slc
	flat_load_ubyte v62, v[52:53] slc
	flat_load_ubyte v63, v[50:51] offset:32 slc
	flat_load_ubyte v72, v[52:53] offset:32 slc
	;; [unrolled: 1-line block ×14, first 2 shown]
	v_add_co_u32 v40, vcc_lo, 0xffffff20, v54
	v_add_co_ci_u32_e64 v41, null, -1, v55, vcc_lo
	v_add_co_u32 v42, vcc_lo, 0xffffff40, v54
	v_add_co_ci_u32_e64 v43, null, -1, v55, vcc_lo
	;; [unrolled: 2-line block ×6, first 2 shown]
	v_add_co_u32 v60, vcc_lo, 0xffffffe0, v54
	v_sub_nc_u32_e32 v67, v67, v81
	v_add_co_ci_u32_e64 v61, null, -1, v55, vcc_lo
	v_add_co_u32 v50, vcc_lo, v50, v99
	v_add_co_ci_u32_e64 v51, null, 0, v51, vcc_lo
	v_add_co_u32 v52, vcc_lo, v52, v99
	v_add_co_ci_u32_e64 v53, null, 0, v53, vcc_lo
	v_cmp_gt_i32_e32 vcc_lo, 1, v67
	s_or_b32 s72, vcc_lo, s72
	s_waitcnt vmcnt(15) lgkmcnt(15)
	v_xor_b32_e32 v93, s63, v119
	s_waitcnt vmcnt(14) lgkmcnt(14)
	v_xor_b32_e32 v94, s63, v62
	;; [unrolled: 2-line block ×6, first 2 shown]
	v_cmp_lt_u16_e64 s16, v93, v94
	s_waitcnt vmcnt(9) lgkmcnt(9)
	v_xor_b32_e32 v107, s63, v75
	s_waitcnt vmcnt(8) lgkmcnt(8)
	v_xor_b32_e32 v108, s63, v76
	s_waitcnt vmcnt(7) lgkmcnt(7)
	v_xor_b32_e32 v109, s63, v77
	s_waitcnt vmcnt(6) lgkmcnt(6)
	v_xor_b32_e32 v110, s63, v78
	v_cndmask_b32_e64 v119, v62, v119, s16
	v_cmp_lt_u16_e64 s16, v95, v104
	s_waitcnt vmcnt(5) lgkmcnt(5)
	v_xor_b32_e32 v111, s63, v79
	s_waitcnt vmcnt(4) lgkmcnt(4)
	v_xor_b32_e32 v120, s63, v88
	;; [unrolled: 2-line block ×4, first 2 shown]
	v_cndmask_b32_e64 v62, v72, v63, s16
	v_cmp_lt_u16_e64 s16, v105, v106
	s_waitcnt vmcnt(1) lgkmcnt(1)
	v_xor_b32_e32 v123, s63, v91
	s_waitcnt vmcnt(0) lgkmcnt(0)
	v_xor_b32_e32 v124, s63, v92
	v_cndmask_b32_e64 v63, v74, v73, s16
	v_cmp_lt_u16_e64 s16, v107, v108
	v_cndmask_b32_e64 v72, v76, v75, s16
	v_cmp_lt_u16_e64 s16, v109, v110
	;; [unrolled: 2-line block ×5, first 2 shown]
	v_cndmask_b32_e64 v76, v92, v91, s16
	flat_store_byte v[40:41], v119 glc slc
	flat_store_byte v[42:43], v62 glc slc
	;; [unrolled: 1-line block ×8, first 2 shown]
	v_add_co_u32 v54, s16, v54, v99
	v_add_co_ci_u32_e64 v55, null, 0, v55, s16
	s_andn2_b32 exec_lo, exec_lo, s72
	s_cbranch_execnz .LBB2_360
; %bb.361:                              ;   in Loop: Header=BB2_272 Depth=3
	s_or_b32 exec_lo, exec_lo, s72
.LBB2_362:                              ;   in Loop: Header=BB2_272 Depth=3
	s_or_b32 exec_lo, exec_lo, s62
	v_lshlrev_b32_e32 v50, 8, v118
	v_cmp_ne_u32_e32 vcc_lo, v64, v50
	s_and_b32 exec_lo, exec_lo, vcc_lo
	s_cbranch_execz .LBB2_366
; %bb.363:                              ;   in Loop: Header=BB2_272 Depth=3
	v_lshlrev_b32_e32 v51, 5, v66
	v_lshlrev_b32_e32 v52, 5, v67
	v_sub_nc_u32_e32 v51, v65, v51
	v_sub_nc_u32_e32 v51, v51, v52
	v_add_nc_u32_e32 v50, v50, v51
	v_sub_nc_u32_e32 v64, v64, v50
	v_cmp_lt_i32_e32 vcc_lo, 0, v64
	s_and_b32 exec_lo, exec_lo, vcc_lo
	s_cbranch_execz .LBB2_366
; %bb.364:                              ;   in Loop: Header=BB2_272 Depth=3
	s_trap 2
	ds_read_b128 v[51:54], v0
	ds_read_b64 v[65:66], v0
	v_add_nc_u32_e32 v9, v50, v9
	s_and_b32 s61, s61, 0xff
	s_mov_b32 s62, 0
	v_ashrrev_i32_e32 v55, 31, v9
	s_waitcnt lgkmcnt(1)
	v_add_co_u32 v50, vcc_lo, v51, v9
	v_add_co_ci_u32_e64 v51, null, v52, v55, vcc_lo
	v_add_co_u32 v52, vcc_lo, v53, v9
	v_add_co_ci_u32_e64 v53, null, v54, v55, vcc_lo
	s_waitcnt lgkmcnt(0)
	v_add_co_u32 v54, vcc_lo, v65, v9
	v_add_co_ci_u32_e64 v55, null, v66, v55, vcc_lo
	.p2align	6
.LBB2_365:                              ;   Parent Loop BB2_47 Depth=1
                                        ;     Parent Loop BB2_269 Depth=2
                                        ;       Parent Loop BB2_272 Depth=3
                                        ; =>      This Inner Loop Header: Depth=4
	flat_load_ubyte v9, v[52:53] slc
	flat_load_ubyte v65, v[50:51] slc
	v_sub_nc_u32_e32 v64, v64, v84
	v_add_co_u32 v50, vcc_lo, v50, v84
	v_add_co_ci_u32_e64 v51, null, 0, v51, vcc_lo
	v_add_co_u32 v52, vcc_lo, v52, v84
	v_add_co_ci_u32_e64 v53, null, 0, v53, vcc_lo
	v_cmp_gt_i32_e32 vcc_lo, 1, v64
	s_or_b32 s62, vcc_lo, s62
	s_waitcnt vmcnt(1) lgkmcnt(1)
	v_xor_b32_e32 v66, s61, v9
	s_waitcnt vmcnt(0) lgkmcnt(0)
	v_xor_b32_e32 v67, s61, v65
	v_cmp_lt_u16_e64 s16, v67, v66
	v_cndmask_b32_e64 v9, v9, v65, s16
	flat_store_byte v[54:55], v9 glc slc
	v_add_co_u32 v54, s16, v54, v84
	v_add_co_ci_u32_e64 v55, null, 0, v55, s16
	s_andn2_b32 exec_lo, exec_lo, s62
	s_cbranch_execnz .LBB2_365
.LBB2_366:                              ;   in Loop: Header=BB2_272 Depth=3
	s_or_b32 exec_lo, exec_lo, s17
	v_cmp_lt_i32_e64 s16, 0, v3
	s_and_saveexec_b32 s17, s6
	s_cbranch_execz .LBB2_385
.LBB2_367:                              ;   in Loop: Header=BB2_272 Depth=3
	s_and_saveexec_b32 s61, s29
	s_xor_b32 s61, exec_lo, s61
	s_cbranch_execz .LBB2_382
; %bb.368:                              ;   in Loop: Header=BB2_272 Depth=3
	s_and_saveexec_b32 s62, s11
	s_cbranch_execz .LBB2_381
; %bb.369:                              ;   in Loop: Header=BB2_272 Depth=3
	s_mov_b32 s72, exec_lo
	s_mov_b32 s63, exec_lo
	v_mbcnt_lo_u32_b32 v3, s72, 0
	s_waitcnt vmcnt(0) lgkmcnt(0)
	s_waitcnt_vscnt null, 0x0
	buffer_gl1_inv
	buffer_gl0_inv
	v_cmpx_eq_u32_e32 0, v3
	s_cbranch_execz .LBB2_371
; %bb.370:                              ;   in Loop: Header=BB2_272 Depth=3
	s_bcnt1_i32_b32 s72, s72
	v_mov_b32_e32 v51, v2
	v_mov_b32_e32 v50, s72
	ds_add_u64 v0, v[50:51]
	s_trap 2
.LBB2_371:                              ;   in Loop: Header=BB2_272 Depth=3
	s_or_b32 exec_lo, exec_lo, s63
	s_trap 2
	ds_read_b64 v[50:51], v0
	s_waitcnt lgkmcnt(0)
	buffer_gl0_inv
	v_add_co_u32 v12, vcc_lo, v12, v81
	v_add_co_ci_u32_e64 v13, null, 0, v13, vcc_lo
	s_mov_b32 s63, exec_lo
	v_cmpx_lt_u64_e64 v[50:51], v[12:13]
	s_cbranch_execz .LBB2_380
; %bb.372:                              ;   in Loop: Header=BB2_272 Depth=3
	s_mov_b32 s72, 0
	s_mov_b32 s75, 0
                                        ; implicit-def: $sgpr73
                                        ; implicit-def: $sgpr74
	s_inst_prefetch 0x1
	s_branch .LBB2_374
	.p2align	6
.LBB2_373:                              ;   in Loop: Header=BB2_374 Depth=4
	s_or_b32 exec_lo, exec_lo, s77
	s_and_b32 s76, exec_lo, s78
	s_or_b32 s72, s76, s72
	s_andn2_b32 s73, s73, exec_lo
	s_and_b32 s76, s74, exec_lo
	s_or_b32 s73, s73, s76
	s_andn2_b32 exec_lo, exec_lo, s72
	s_cbranch_execz .LBB2_378
.LBB2_374:                              ;   Parent Loop BB2_47 Depth=1
                                        ;     Parent Loop BB2_269 Depth=2
                                        ;       Parent Loop BB2_272 Depth=3
                                        ; =>      This Inner Loop Header: Depth=4
	s_add_i32 s75, s75, 1
	s_cmpk_lg_i32 s75, 0x2710
	s_cselect_b32 s76, -1, 0
	s_and_b32 vcc_lo, exec_lo, s76
	s_cbranch_vccz .LBB2_376
; %bb.375:                              ;   in Loop: Header=BB2_374 Depth=4
	s_mov_b32 s78, -1
	s_or_b32 s74, s74, exec_lo
	s_and_saveexec_b32 s77, s76
	s_cbranch_execz .LBB2_373
	s_branch .LBB2_377
	.p2align	6
.LBB2_376:                              ;   in Loop: Header=BB2_374 Depth=4
	s_trap 2
	ds_read_b64 v[50:51], v0
	s_andn2_b32 s76, s76, exec_lo
	s_mov_b32 s75, 0
	s_waitcnt lgkmcnt(0)
	flat_load_dword v3, v[50:51] glc dlc
	s_waitcnt vmcnt(0) lgkmcnt(0)
	buffer_gl1_inv
	buffer_gl0_inv
	v_cmp_eq_u32_e32 vcc_lo, 0, v3
	s_and_b32 s77, vcc_lo, exec_lo
	s_or_b32 s76, s76, s77
	s_mov_b32 s78, -1
	s_or_b32 s74, s74, exec_lo
	s_and_saveexec_b32 s77, s76
	s_cbranch_execz .LBB2_373
.LBB2_377:                              ;   in Loop: Header=BB2_374 Depth=4
	s_sleep 1
	s_trap 2
	ds_read_b64 v[50:51], v0
	s_waitcnt lgkmcnt(0)
	buffer_gl0_inv
	s_andn2_b32 s74, s74, exec_lo
	v_cmp_ge_u64_e32 vcc_lo, v[50:51], v[12:13]
	s_orn2_b32 s78, vcc_lo, exec_lo
	s_branch .LBB2_373
.LBB2_378:                              ;   in Loop: Header=BB2_272 Depth=3
	s_inst_prefetch 0x2
	s_or_b32 exec_lo, exec_lo, s72
	s_and_saveexec_b32 s72, s73
	s_xor_b32 s72, exec_lo, s72
	s_cbranch_execz .LBB2_380
; %bb.379:                              ;   in Loop: Header=BB2_272 Depth=3
	ds_write_b32 v0, v86
	s_trap 2
.LBB2_380:                              ;   in Loop: Header=BB2_272 Depth=3
	s_or_b32 exec_lo, exec_lo, s63
	;;#ASMSTART
	s_wakeup
	;;#ASMEND
.LBB2_381:                              ;   in Loop: Header=BB2_272 Depth=3
	s_or_b32 exec_lo, exec_lo, s62
.LBB2_382:                              ;   in Loop: Header=BB2_272 Depth=3
	s_andn2_saveexec_b32 s61, s61
	s_cbranch_execz .LBB2_384
; %bb.383:                              ;   in Loop: Header=BB2_272 Depth=3
	s_waitcnt vmcnt(0) lgkmcnt(0)
	s_waitcnt_vscnt null, 0x0
	buffer_gl1_inv
	buffer_gl0_inv
	s_barrier
.LBB2_384:                              ;   in Loop: Header=BB2_272 Depth=3
	s_or_b32 exec_lo, exec_lo, s61
.LBB2_385:                              ;   in Loop: Header=BB2_272 Depth=3
	s_or_b32 exec_lo, exec_lo, s17
	v_and_b32_e32 v3, 16, v71
	s_and_saveexec_b32 s17, s15
	s_xor_b32 s17, exec_lo, s17
	s_cbranch_execz .LBB2_389
; %bb.386:                              ;   in Loop: Header=BB2_272 Depth=3
	v_and_b32_e32 v3, 16, v71
	v_cmp_ne_u32_e32 vcc_lo, 0, v3
	v_and_b32_e32 v3, 16, v71
	s_and_b32 s61, vcc_lo, s16
	s_and_saveexec_b32 s16, s61
	s_cbranch_execz .LBB2_388
; %bb.387:                              ;   in Loop: Header=BB2_272 Depth=3
	v_mov_b32_e32 v3, 1
	s_waitcnt vmcnt(0) lgkmcnt(0)
	s_waitcnt_vscnt null, 0x0
	buffer_gl1_inv
	buffer_gl0_inv
.LBB2_388:                              ;   in Loop: Header=BB2_272 Depth=3
	s_or_b32 exec_lo, exec_lo, s16
.LBB2_389:                              ;   in Loop: Header=BB2_272 Depth=3
	s_andn2_saveexec_b32 s16, s17
	s_cbranch_execz .LBB2_408
; %bb.390:                              ;   in Loop: Header=BB2_272 Depth=3
	s_and_saveexec_b32 s17, s29
	s_xor_b32 s17, exec_lo, s17
	s_cbranch_execz .LBB2_405
; %bb.391:                              ;   in Loop: Header=BB2_272 Depth=3
	s_and_saveexec_b32 s61, s11
	s_cbranch_execz .LBB2_404
; %bb.392:                              ;   in Loop: Header=BB2_272 Depth=3
	s_mov_b32 s63, exec_lo
	s_mov_b32 s62, exec_lo
	v_mbcnt_lo_u32_b32 v9, s63, 0
	;;#ASMSTART
	s_waitcnt lgkmcnt(0) vmcnt(0)
	;;#ASMEND
	v_cmpx_eq_u32_e32 0, v9
	s_cbranch_execz .LBB2_394
; %bb.393:                              ;   in Loop: Header=BB2_272 Depth=3
	s_bcnt1_i32_b32 s63, s63
	v_mov_b32_e32 v51, v2
	v_mov_b32_e32 v50, s63
	s_waitcnt vmcnt(0) lgkmcnt(0)
	s_waitcnt_vscnt null, 0x0
	ds_add_u64 v0, v[50:51]
	s_trap 2
.LBB2_394:                              ;   in Loop: Header=BB2_272 Depth=3
	s_or_b32 exec_lo, exec_lo, s62
	s_trap 2
	ds_read_b64 v[50:51], v0
	s_waitcnt vmcnt(0) lgkmcnt(0)
	buffer_gl0_inv
	v_add_co_u32 v12, vcc_lo, v12, v81
	v_add_co_ci_u32_e64 v13, null, 0, v13, vcc_lo
	s_mov_b32 s62, exec_lo
	v_cmpx_lt_u64_e64 v[50:51], v[12:13]
	s_cbranch_execz .LBB2_403
; %bb.395:                              ;   in Loop: Header=BB2_272 Depth=3
	s_mov_b32 s63, 0
	s_mov_b32 s74, 0
                                        ; implicit-def: $sgpr72
                                        ; implicit-def: $sgpr73
	s_inst_prefetch 0x1
	s_branch .LBB2_397
	.p2align	6
.LBB2_396:                              ;   in Loop: Header=BB2_397 Depth=4
	s_or_b32 exec_lo, exec_lo, s76
	s_and_b32 s75, exec_lo, s77
	s_or_b32 s63, s75, s63
	s_andn2_b32 s72, s72, exec_lo
	s_and_b32 s75, s73, exec_lo
	s_or_b32 s72, s72, s75
	s_andn2_b32 exec_lo, exec_lo, s63
	s_cbranch_execz .LBB2_401
.LBB2_397:                              ;   Parent Loop BB2_47 Depth=1
                                        ;     Parent Loop BB2_269 Depth=2
                                        ;       Parent Loop BB2_272 Depth=3
                                        ; =>      This Inner Loop Header: Depth=4
	s_add_i32 s74, s74, 1
	s_cmpk_lg_i32 s74, 0x2710
	s_cselect_b32 s75, -1, 0
	s_and_b32 vcc_lo, exec_lo, s75
	s_cbranch_vccz .LBB2_399
; %bb.398:                              ;   in Loop: Header=BB2_397 Depth=4
	s_mov_b32 s77, -1
	s_or_b32 s73, s73, exec_lo
	s_and_saveexec_b32 s76, s75
	s_cbranch_execz .LBB2_396
	s_branch .LBB2_400
	.p2align	6
.LBB2_399:                              ;   in Loop: Header=BB2_397 Depth=4
	s_trap 2
	ds_read_b64 v[50:51], v0
	s_andn2_b32 s75, s75, exec_lo
	s_mov_b32 s74, 0
	s_waitcnt lgkmcnt(0)
	s_waitcnt_vscnt null, 0x0
	flat_load_dword v9, v[50:51] glc dlc
	s_waitcnt vmcnt(0) lgkmcnt(0)
	buffer_gl1_inv
	buffer_gl0_inv
	v_cmp_eq_u32_e32 vcc_lo, 0, v9
	s_and_b32 s76, vcc_lo, exec_lo
	s_or_b32 s75, s75, s76
	s_mov_b32 s77, -1
	s_or_b32 s73, s73, exec_lo
	s_and_saveexec_b32 s76, s75
	s_cbranch_execz .LBB2_396
.LBB2_400:                              ;   in Loop: Header=BB2_397 Depth=4
	s_sleep 1
	s_trap 2
	ds_read_b64 v[50:51], v0
	s_waitcnt lgkmcnt(0)
	buffer_gl0_inv
	s_andn2_b32 s73, s73, exec_lo
	v_cmp_ge_u64_e32 vcc_lo, v[50:51], v[12:13]
	s_orn2_b32 s77, vcc_lo, exec_lo
	s_branch .LBB2_396
.LBB2_401:                              ;   in Loop: Header=BB2_272 Depth=3
	s_inst_prefetch 0x2
	s_or_b32 exec_lo, exec_lo, s63
	s_and_saveexec_b32 s63, s72
	s_xor_b32 s63, exec_lo, s63
	s_cbranch_execz .LBB2_403
; %bb.402:                              ;   in Loop: Header=BB2_272 Depth=3
	ds_write_b32 v0, v86
	s_trap 2
.LBB2_403:                              ;   in Loop: Header=BB2_272 Depth=3
	s_or_b32 exec_lo, exec_lo, s62
	;;#ASMSTART
	s_wakeup
	;;#ASMEND
.LBB2_404:                              ;   in Loop: Header=BB2_272 Depth=3
	s_or_b32 exec_lo, exec_lo, s61
.LBB2_405:                              ;   in Loop: Header=BB2_272 Depth=3
	s_andn2_saveexec_b32 s17, s17
	s_cbranch_execz .LBB2_407
; %bb.406:                              ;   in Loop: Header=BB2_272 Depth=3
	;;#ASMSTART
	s_waitcnt lgkmcnt(0) vmcnt(0)
	;;#ASMEND
	s_barrier
.LBB2_407:                              ;   in Loop: Header=BB2_272 Depth=3
	s_or_b32 exec_lo, exec_lo, s17
.LBB2_408:                              ;   in Loop: Header=BB2_272 Depth=3
	s_or_b32 exec_lo, exec_lo, s16
	v_cmp_ne_u32_e32 vcc_lo, 0, v3
	s_xor_b32 s16, s7, -1
	s_and_b32 s17, vcc_lo, s16
	s_and_saveexec_b32 s16, s17
	s_cbranch_execz .LBB2_410
; %bb.409:                              ;   in Loop: Header=BB2_272 Depth=3
	s_waitcnt vmcnt(0) lgkmcnt(0)
	s_waitcnt_vscnt null, 0x0
	flat_store_dword v[24:25], v86
.LBB2_410:                              ;   in Loop: Header=BB2_272 Depth=3
	s_or_b32 exec_lo, exec_lo, s16
	v_and_b32_e32 v3, 48, v71
	s_mov_b32 s16, exec_lo
	v_cmpx_ne_u32_e32 0, v3
	s_cbranch_execz .LBB2_271
; %bb.411:                              ;   in Loop: Header=BB2_272 Depth=3
	v_add_co_u32 v38, vcc_lo, v38, 2
	v_add_co_ci_u32_e64 v39, null, 0, v39, vcc_lo
	s_waitcnt vmcnt(0) lgkmcnt(0)
	s_waitcnt_vscnt null, 0x0
	flat_store_dwordx2 v[20:21], v[38:39]
	s_branch .LBB2_271
.LBB2_412:                              ;   in Loop: Header=BB2_269 Depth=2
	s_or_b32 exec_lo, exec_lo, s21
.LBB2_413:                              ;   in Loop: Header=BB2_269 Depth=2
	s_or_b32 exec_lo, exec_lo, s19
	s_mov_b32 s17, exec_lo
	v_cmpx_gt_i32_e32 2, v3
	s_cbranch_execz .LBB2_268
; %bb.414:                              ;   in Loop: Header=BB2_269 Depth=2
	v_cmp_eq_u32_e64 s21, 0, v3
	s_mov_b32 s19, 0
	s_branch .LBB2_416
.LBB2_415:                              ;   in Loop: Header=BB2_416 Depth=3
	s_or_b32 exec_lo, exec_lo, s16
	v_add_nc_u32_e32 v69, v8, v69
	s_mov_b32 s21, 0
	s_andn2_b32 exec_lo, exec_lo, s19
	s_cbranch_execz .LBB2_267
.LBB2_416:                              ;   Parent Loop BB2_47 Depth=1
                                        ;     Parent Loop BB2_269 Depth=2
                                        ; =>    This Loop Header: Depth=3
                                        ;         Child Loop BB2_422 Depth 4
                                        ;         Child Loop BB2_450 Depth 4
	;; [unrolled: 1-line block ×3, first 2 shown]
	v_sub_nc_u32_e32 v3, v68, v69
	v_and_b32_e32 v9, 12, v71
	s_mov_b32 s22, exec_lo
	v_min_i32_e32 v8, v8, v3
	v_cmpx_ne_u32_e32 0, v9
	s_cbranch_execz .LBB2_442
; %bb.417:                              ;   in Loop: Header=BB2_416 Depth=3
	v_and_b32_e32 v3, 8, v71
	s_mov_b32 s23, exec_lo
	s_waitcnt vmcnt(0) lgkmcnt(1)
	v_add_co_u32 v50, vcc_lo, v26, v3
	v_add_co_ci_u32_e64 v51, null, 0, v27, vcc_lo
	v_add_co_u32 v10, vcc_lo, v38, 2
	v_add_co_ci_u32_e64 v11, null, 0, v39, vcc_lo
	v_cmpx_lt_u64_e64 v[50:51], v[10:11]
	s_cbranch_execz .LBB2_429
; %bb.418:                              ;   in Loop: Header=BB2_416 Depth=3
	v_and_b32_e32 v9, 64, v71
	s_mov_b32 s61, 0
	s_mov_b32 s73, 0
                                        ; implicit-def: $sgpr62
                                        ; implicit-def: $sgpr63
                                        ; implicit-def: $sgpr72
	v_cmp_eq_u32_e32 vcc_lo, 0, v9
	s_branch .LBB2_422
.LBB2_419:                              ;   in Loop: Header=BB2_422 Depth=4
	s_waitcnt vmcnt(0) lgkmcnt(0)
	v_add_co_u32 v50, s16, v26, v3
	v_add_co_ci_u32_e64 v51, null, 0, v27, s16
	s_or_b32 s76, s76, exec_lo
	v_cmp_ge_u64_e64 s16, v[50:51], v[10:11]
	s_orn2_b32 s75, s16, exec_lo
.LBB2_420:                              ;   in Loop: Header=BB2_422 Depth=4
	s_or_b32 exec_lo, exec_lo, s78
	s_andn2_b32 s16, s72, exec_lo
	s_and_b32 s72, s76, exec_lo
	s_andn2_b32 s63, s63, exec_lo
	s_and_b32 s75, s75, exec_lo
	s_or_b32 s72, s16, s72
	s_or_b32 s63, s63, s75
.LBB2_421:                              ;   in Loop: Header=BB2_422 Depth=4
	s_or_b32 exec_lo, exec_lo, s74
	s_and_b32 s16, exec_lo, s63
	s_or_b32 s61, s16, s61
	s_andn2_b32 s16, s62, exec_lo
	s_and_b32 s62, s72, exec_lo
	s_or_b32 s62, s16, s62
	s_andn2_b32 exec_lo, exec_lo, s61
	s_cbranch_execz .LBB2_426
.LBB2_422:                              ;   Parent Loop BB2_47 Depth=1
                                        ;     Parent Loop BB2_269 Depth=2
                                        ;       Parent Loop BB2_416 Depth=3
                                        ; =>      This Inner Loop Header: Depth=4
	s_sleep 1
	s_waitcnt vmcnt(0) lgkmcnt(0)
	flat_load_dwordx2 v[26:27], v[20:21] glc dlc
	s_or_b32 s72, s72, exec_lo
	s_or_b32 s63, s63, exec_lo
                                        ; implicit-def: $vgpr9
	s_and_saveexec_b32 s74, vcc_lo
	s_cbranch_execz .LBB2_421
; %bb.423:                              ;   in Loop: Header=BB2_422 Depth=4
	s_cmpk_lt_i32 s73, 0x270f
	s_mov_b32 s75, -1
	s_cselect_b32 s77, -1, 0
	s_cmpk_gt_i32 s73, 0x270e
	s_cbranch_scc0 .LBB2_425
; %bb.424:                              ;   in Loop: Header=BB2_422 Depth=4
	s_trap 2
	ds_read_b64 v[50:51], v0
	s_andn2_b32 s73, s77, exec_lo
	s_mov_b32 s76, 0
	s_waitcnt vmcnt(0) lgkmcnt(0)
	s_waitcnt_vscnt null, 0x0
	flat_load_dword v9, v[50:51] glc dlc
	s_waitcnt vmcnt(0) lgkmcnt(0)
	buffer_gl1_inv
	buffer_gl0_inv
	v_cmp_eq_u32_e64 s16, 0, v9
	s_and_b32 s16, s16, exec_lo
	s_or_b32 s77, s73, s16
	s_mov_b32 s73, 0
	s_and_saveexec_b32 s78, s77
	s_cbranch_execz .LBB2_420
	s_branch .LBB2_419
.LBB2_425:                              ;   in Loop: Header=BB2_422 Depth=4
	s_add_i32 s73, s73, 1
	s_mov_b32 s76, -1
                                        ; implicit-def: $vgpr9
	s_and_saveexec_b32 s78, s77
	s_cbranch_execz .LBB2_420
	s_branch .LBB2_419
.LBB2_426:                              ;   in Loop: Header=BB2_416 Depth=3
	s_or_b32 exec_lo, exec_lo, s61
	s_xor_b32 s16, s62, -1
	s_and_saveexec_b32 s61, s16
	s_xor_b32 s16, exec_lo, s61
	s_cbranch_execz .LBB2_428
; %bb.427:                              ;   in Loop: Header=BB2_416 Depth=3
	v_or_b32_e32 v71, 64, v71
	s_waitcnt vmcnt(0) lgkmcnt(0)
	s_waitcnt_vscnt null, 0x0
	ds_write_b32 v0, v9
	s_trap 2
.LBB2_428:                              ;   in Loop: Header=BB2_416 Depth=3
	s_or_b32 exec_lo, exec_lo, s16
.LBB2_429:                              ;   in Loop: Header=BB2_416 Depth=3
	s_or_b32 exec_lo, exec_lo, s23
	v_and_b32_e32 v9, 0x108, v71
	s_mov_b32 s16, exec_lo
	;;#ASMSTART
	s_wakeup
	;;#ASMEND
                                        ; implicit-def: $vgpr50_vgpr51
	v_cmpx_ne_u32_e32 0x108, v9
	s_xor_b32 s16, exec_lo, s16
; %bb.430:                              ;   in Loop: Header=BB2_416 Depth=3
	v_and_b32_e32 v50, 7, v38
	v_mov_b32_e32 v51, v2
                                        ; implicit-def: $vgpr38_vgpr39
; %bb.431:                              ;   in Loop: Header=BB2_416 Depth=3
	s_andn2_saveexec_b32 s16, s16
	s_cbranch_execz .LBB2_433
; %bb.432:                              ;   in Loop: Header=BB2_416 Depth=3
	v_and_b32_e32 v50, 7, v38
	v_ashrrev_i32_e32 v9, 31, v8
	v_mov_b32_e32 v51, v2
	v_mad_u64_u32 v[38:39], null, v50, 24, v[6:7]
	flat_store_dwordx2 v[38:39], v[8:9] offset:8
.LBB2_433:                              ;   in Loop: Header=BB2_416 Depth=3
	s_or_b32 exec_lo, exec_lo, s16
	v_and_b32_e32 v9, 0x100, v71
	s_mov_b32 s16, -1
	s_mov_b32 s23, exec_lo
                                        ; implicit-def: $vgpr38_vgpr39
	v_cmpx_ne_u32_e32 0, v9
	s_cbranch_execz .LBB2_437
; %bb.434:                              ;   in Loop: Header=BB2_416 Depth=3
	v_mad_u64_u32 v[52:53], null, v50, 24, v[6:7]
	s_mov_b32 s61, exec_lo
	v_mov_b32_e32 v9, v53
	v_mad_u64_u32 v[38:39], null, v51, 24, v[9:10]
	v_mov_b32_e32 v53, v38
                                        ; implicit-def: $vgpr38_vgpr39
	flat_load_dword v9, v[52:53]
	s_waitcnt vmcnt(0) lgkmcnt(0)
	v_cmp_ne_u32_e32 vcc_lo, 1, v9
	v_cmpx_eq_u32_e32 1, v9
	s_cbranch_execz .LBB2_436
; %bb.435:                              ;   in Loop: Header=BB2_416 Depth=3
	flat_load_dword v38, v[52:53] offset:4 glc dlc
	s_waitcnt vmcnt(0) lgkmcnt(0)
	v_ashrrev_i32_e32 v39, 31, v38
.LBB2_436:                              ;   in Loop: Header=BB2_416 Depth=3
	s_or_b32 exec_lo, exec_lo, s61
	s_orn2_b32 s16, vcc_lo, exec_lo
.LBB2_437:                              ;   in Loop: Header=BB2_416 Depth=3
	s_or_b32 exec_lo, exec_lo, s23
	s_and_saveexec_b32 s23, s16
; %bb.438:                              ;   in Loop: Header=BB2_416 Depth=3
	v_mul_lo_u32 v9, v51, v80
	v_mul_lo_u32 v51, v50, v30
	v_mad_u64_u32 v[38:39], null, v50, v80, 0
	v_add3_u32 v39, v39, v51, v9
; %bb.439:                              ;   in Loop: Header=BB2_416 Depth=3
	s_or_b32 exec_lo, exec_lo, s23
	v_cmp_eq_u32_e32 vcc_lo, 0, v3
	v_and_b32_e32 v9, 0x2000, v71
	s_mov_b32 s16, exec_lo
	v_cndmask_b32_e32 v3, 0xc8, v87, vcc_lo
	v_add_co_u32 v38, vcc_lo, v22, v38
	v_add_co_ci_u32_e64 v39, null, v23, v39, vcc_lo
	v_add_nc_u32_e32 v3, v0, v3
	ds_write_b64 v3, v[38:39] offset:584
	v_cmpx_ne_u32_e32 0, v9
	s_cbranch_execz .LBB2_441
; %bb.440:                              ;   in Loop: Header=BB2_416 Depth=3
	ds_read_b64 v[38:39], v0 offset:872
	s_waitcnt lgkmcnt(0)
	v_add_co_u32 v38, vcc_lo, v38, 1
	v_add_co_ci_u32_e64 v39, null, 0, v39, vcc_lo
	ds_write_b64 v0, v[38:39] offset:872
.LBB2_441:                              ;   in Loop: Header=BB2_416 Depth=3
	s_or_b32 exec_lo, exec_lo, s16
	v_mov_b32_e32 v39, v11
	v_mov_b32_e32 v38, v10
.LBB2_442:                              ;   in Loop: Header=BB2_416 Depth=3
	s_or_b32 exec_lo, exec_lo, s22
	s_xor_b32 s16, s21, -1
	s_and_b32 s16, exec_lo, s16
	s_or_b32 s19, s16, s19
	s_and_saveexec_b32 s16, s6
	s_cbranch_execz .LBB2_461
; %bb.443:                              ;   in Loop: Header=BB2_416 Depth=3
	s_and_saveexec_b32 s21, s29
	s_xor_b32 s21, exec_lo, s21
	s_cbranch_execz .LBB2_458
; %bb.444:                              ;   in Loop: Header=BB2_416 Depth=3
	s_and_saveexec_b32 s22, s11
	s_cbranch_execz .LBB2_457
; %bb.445:                              ;   in Loop: Header=BB2_416 Depth=3
	s_mov_b32 s61, exec_lo
	s_mov_b32 s23, exec_lo
	v_mbcnt_lo_u32_b32 v3, s61, 0
	s_waitcnt vmcnt(0) lgkmcnt(0)
	s_waitcnt_vscnt null, 0x0
	buffer_gl1_inv
	buffer_gl0_inv
	v_cmpx_eq_u32_e32 0, v3
	s_cbranch_execz .LBB2_447
; %bb.446:                              ;   in Loop: Header=BB2_416 Depth=3
	s_bcnt1_i32_b32 s61, s61
	v_mov_b32_e32 v10, v2
	v_mov_b32_e32 v9, s61
	ds_add_u64 v0, v[9:10]
	s_trap 2
.LBB2_447:                              ;   in Loop: Header=BB2_416 Depth=3
	s_or_b32 exec_lo, exec_lo, s23
	s_trap 2
	ds_read_b64 v[9:10], v0
	s_waitcnt lgkmcnt(0)
	buffer_gl0_inv
	v_add_co_u32 v12, vcc_lo, v12, v81
	v_add_co_ci_u32_e64 v13, null, 0, v13, vcc_lo
	s_mov_b32 s23, exec_lo
	v_cmpx_lt_u64_e64 v[9:10], v[12:13]
	s_cbranch_execz .LBB2_456
; %bb.448:                              ;   in Loop: Header=BB2_416 Depth=3
	s_mov_b32 s61, 0
	s_mov_b32 s72, 0
                                        ; implicit-def: $sgpr62
                                        ; implicit-def: $sgpr63
	s_inst_prefetch 0x1
	s_branch .LBB2_450
	.p2align	6
.LBB2_449:                              ;   in Loop: Header=BB2_450 Depth=4
	s_or_b32 exec_lo, exec_lo, s74
	s_and_b32 s73, exec_lo, s75
	s_or_b32 s61, s73, s61
	s_andn2_b32 s62, s62, exec_lo
	s_and_b32 s73, s63, exec_lo
	s_or_b32 s62, s62, s73
	s_andn2_b32 exec_lo, exec_lo, s61
	s_cbranch_execz .LBB2_454
.LBB2_450:                              ;   Parent Loop BB2_47 Depth=1
                                        ;     Parent Loop BB2_269 Depth=2
                                        ;       Parent Loop BB2_416 Depth=3
                                        ; =>      This Inner Loop Header: Depth=4
	s_add_i32 s72, s72, 1
	s_cmpk_lg_i32 s72, 0x2710
	s_cselect_b32 s73, -1, 0
	s_and_b32 vcc_lo, exec_lo, s73
	s_cbranch_vccz .LBB2_452
; %bb.451:                              ;   in Loop: Header=BB2_450 Depth=4
	s_mov_b32 s75, -1
	s_or_b32 s63, s63, exec_lo
	s_and_saveexec_b32 s74, s73
	s_cbranch_execz .LBB2_449
	s_branch .LBB2_453
	.p2align	6
.LBB2_452:                              ;   in Loop: Header=BB2_450 Depth=4
	s_trap 2
	ds_read_b64 v[9:10], v0
	s_andn2_b32 s73, s73, exec_lo
	s_mov_b32 s72, 0
	s_waitcnt lgkmcnt(0)
	flat_load_dword v3, v[9:10] glc dlc
	s_waitcnt vmcnt(0) lgkmcnt(0)
	buffer_gl1_inv
	buffer_gl0_inv
	v_cmp_eq_u32_e32 vcc_lo, 0, v3
	s_and_b32 s74, vcc_lo, exec_lo
	s_or_b32 s73, s73, s74
	s_mov_b32 s75, -1
	s_or_b32 s63, s63, exec_lo
	s_and_saveexec_b32 s74, s73
	s_cbranch_execz .LBB2_449
.LBB2_453:                              ;   in Loop: Header=BB2_450 Depth=4
	s_sleep 1
	s_trap 2
	ds_read_b64 v[9:10], v0
	s_waitcnt lgkmcnt(0)
	buffer_gl0_inv
	s_andn2_b32 s63, s63, exec_lo
	v_cmp_ge_u64_e32 vcc_lo, v[9:10], v[12:13]
	s_orn2_b32 s75, vcc_lo, exec_lo
	s_branch .LBB2_449
.LBB2_454:                              ;   in Loop: Header=BB2_416 Depth=3
	s_inst_prefetch 0x2
	s_or_b32 exec_lo, exec_lo, s61
	s_and_saveexec_b32 s61, s62
	s_xor_b32 s61, exec_lo, s61
	s_cbranch_execz .LBB2_456
; %bb.455:                              ;   in Loop: Header=BB2_416 Depth=3
	ds_write_b32 v0, v86
	s_trap 2
.LBB2_456:                              ;   in Loop: Header=BB2_416 Depth=3
	s_or_b32 exec_lo, exec_lo, s23
	;;#ASMSTART
	s_wakeup
	;;#ASMEND
.LBB2_457:                              ;   in Loop: Header=BB2_416 Depth=3
	s_or_b32 exec_lo, exec_lo, s22
.LBB2_458:                              ;   in Loop: Header=BB2_416 Depth=3
	s_andn2_saveexec_b32 s21, s21
	s_cbranch_execz .LBB2_460
; %bb.459:                              ;   in Loop: Header=BB2_416 Depth=3
	s_waitcnt vmcnt(0) lgkmcnt(0)
	s_waitcnt_vscnt null, 0x0
	buffer_gl1_inv
	buffer_gl0_inv
	s_barrier
.LBB2_460:                              ;   in Loop: Header=BB2_416 Depth=3
	s_or_b32 exec_lo, exec_lo, s21
.LBB2_461:                              ;   in Loop: Header=BB2_416 Depth=3
	s_or_b32 exec_lo, exec_lo, s16
                                        ; implicit-def: $vgpr3
	s_and_saveexec_b32 s16, s47
	s_xor_b32 s16, exec_lo, s16
	s_cbranch_execz .LBB2_473
; %bb.462:                              ;   in Loop: Header=BB2_416 Depth=3
	s_and_saveexec_b32 s21, s29
	s_xor_b32 s21, exec_lo, s21
	s_cbranch_execz .LBB2_478
; %bb.463:                              ;   in Loop: Header=BB2_416 Depth=3
	s_and_saveexec_b32 s22, s11
	s_cbranch_execz .LBB2_477
; %bb.464:                              ;   in Loop: Header=BB2_416 Depth=3
	s_mov_b32 s61, exec_lo
	s_mov_b32 s23, exec_lo
	v_mbcnt_lo_u32_b32 v3, s61, 0
	;;#ASMSTART
	s_waitcnt lgkmcnt(0) vmcnt(0)
	;;#ASMEND
	v_cmpx_eq_u32_e32 0, v3
	s_cbranch_execz .LBB2_466
; %bb.465:                              ;   in Loop: Header=BB2_416 Depth=3
	s_bcnt1_i32_b32 s61, s61
	v_mov_b32_e32 v10, v2
	v_mov_b32_e32 v9, s61
	s_waitcnt vmcnt(0) lgkmcnt(0)
	s_waitcnt_vscnt null, 0x0
	ds_add_u64 v0, v[9:10]
	s_trap 2
.LBB2_466:                              ;   in Loop: Header=BB2_416 Depth=3
	s_or_b32 exec_lo, exec_lo, s23
	s_trap 2
	ds_read_b64 v[9:10], v0
	s_waitcnt vmcnt(0) lgkmcnt(0)
	buffer_gl0_inv
	v_add_co_u32 v12, vcc_lo, v12, v81
	v_add_co_ci_u32_e64 v13, null, 0, v13, vcc_lo
	s_mov_b32 s23, exec_lo
	v_cmpx_lt_u64_e64 v[9:10], v[12:13]
	s_cbranch_execz .LBB2_476
; %bb.467:                              ;   in Loop: Header=BB2_416 Depth=3
	s_mov_b32 s61, 0
	s_mov_b32 s72, 0
                                        ; implicit-def: $sgpr62
                                        ; implicit-def: $sgpr63
	s_inst_prefetch 0x1
	s_branch .LBB2_469
	.p2align	6
.LBB2_468:                              ;   in Loop: Header=BB2_469 Depth=4
	s_or_b32 exec_lo, exec_lo, s74
	s_and_b32 s73, exec_lo, s75
	s_or_b32 s61, s73, s61
	s_andn2_b32 s62, s62, exec_lo
	s_and_b32 s73, s63, exec_lo
	s_or_b32 s62, s62, s73
	s_andn2_b32 exec_lo, exec_lo, s61
	s_cbranch_execz .LBB2_474
.LBB2_469:                              ;   Parent Loop BB2_47 Depth=1
                                        ;     Parent Loop BB2_269 Depth=2
                                        ;       Parent Loop BB2_416 Depth=3
                                        ; =>      This Inner Loop Header: Depth=4
	s_add_i32 s72, s72, 1
	s_cmpk_lg_i32 s72, 0x2710
	s_cselect_b32 s73, -1, 0
	s_and_b32 vcc_lo, exec_lo, s73
	s_cbranch_vccz .LBB2_471
; %bb.470:                              ;   in Loop: Header=BB2_469 Depth=4
	s_mov_b32 s75, -1
	s_or_b32 s63, s63, exec_lo
	s_and_saveexec_b32 s74, s73
	s_cbranch_execz .LBB2_468
	s_branch .LBB2_472
	.p2align	6
.LBB2_471:                              ;   in Loop: Header=BB2_469 Depth=4
	s_trap 2
	ds_read_b64 v[9:10], v0
	s_andn2_b32 s73, s73, exec_lo
	s_mov_b32 s72, 0
	s_waitcnt lgkmcnt(0)
	s_waitcnt_vscnt null, 0x0
	flat_load_dword v3, v[9:10] glc dlc
	s_waitcnt vmcnt(0) lgkmcnt(0)
	buffer_gl1_inv
	buffer_gl0_inv
	v_cmp_eq_u32_e32 vcc_lo, 0, v3
	s_and_b32 s74, vcc_lo, exec_lo
	s_or_b32 s73, s73, s74
	s_mov_b32 s75, -1
	s_or_b32 s63, s63, exec_lo
	s_and_saveexec_b32 s74, s73
	s_cbranch_execz .LBB2_468
.LBB2_472:                              ;   in Loop: Header=BB2_469 Depth=4
	s_sleep 1
	s_trap 2
	ds_read_b64 v[9:10], v0
	s_waitcnt lgkmcnt(0)
	buffer_gl0_inv
	s_andn2_b32 s63, s63, exec_lo
	v_cmp_ge_u64_e32 vcc_lo, v[9:10], v[12:13]
	s_orn2_b32 s75, vcc_lo, exec_lo
	s_branch .LBB2_468
.LBB2_473:                              ;   in Loop: Header=BB2_416 Depth=3
	s_andn2_saveexec_b32 s21, s16
	s_cbranch_execnz .LBB2_481
	s_branch .LBB2_484
.LBB2_474:                              ;   in Loop: Header=BB2_416 Depth=3
	s_inst_prefetch 0x2
	s_or_b32 exec_lo, exec_lo, s61
	s_and_saveexec_b32 s61, s62
	s_xor_b32 s61, exec_lo, s61
	s_cbranch_execz .LBB2_476
; %bb.475:                              ;   in Loop: Header=BB2_416 Depth=3
	ds_write_b32 v0, v86
	s_trap 2
.LBB2_476:                              ;   in Loop: Header=BB2_416 Depth=3
	s_or_b32 exec_lo, exec_lo, s23
	;;#ASMSTART
	s_wakeup
	;;#ASMEND
.LBB2_477:                              ;   in Loop: Header=BB2_416 Depth=3
	s_or_b32 exec_lo, exec_lo, s22
.LBB2_478:                              ;   in Loop: Header=BB2_416 Depth=3
	s_andn2_saveexec_b32 s21, s21
	s_cbranch_execz .LBB2_480
; %bb.479:                              ;   in Loop: Header=BB2_416 Depth=3
	;;#ASMSTART
	s_waitcnt lgkmcnt(0) vmcnt(0)
	;;#ASMEND
	s_barrier
.LBB2_480:                              ;   in Loop: Header=BB2_416 Depth=3
	s_or_b32 exec_lo, exec_lo, s21
	v_and_b32_e32 v3, 16, v71
	s_andn2_saveexec_b32 s21, s16
	s_cbranch_execz .LBB2_484
.LBB2_481:                              ;   in Loop: Header=BB2_416 Depth=3
	s_trap 2
	ds_read_b32 v3, v0
	v_cmp_lt_i32_e32 vcc_lo, 0, v8
	s_waitcnt lgkmcnt(0)
	v_readfirstlane_b32 s16, v3
	v_and_b32_e32 v3, 16, v71
	s_cmp_eq_u32 s16, 0
	v_cmp_ne_u32_e64 s16, 0, v3
	s_cselect_b32 s22, -1, 0
	v_and_b32_e32 v3, 16, v71
	s_and_b32 s22, vcc_lo, s22
	s_and_b32 s22, s16, s22
	s_and_saveexec_b32 s16, s22
	s_cbranch_execz .LBB2_483
; %bb.482:                              ;   in Loop: Header=BB2_416 Depth=3
	v_mov_b32_e32 v3, 1
	s_waitcnt vmcnt(0)
	s_waitcnt_vscnt null, 0x0
	buffer_gl1_inv
	buffer_gl0_inv
.LBB2_483:                              ;   in Loop: Header=BB2_416 Depth=3
	s_or_b32 exec_lo, exec_lo, s16
.LBB2_484:                              ;   in Loop: Header=BB2_416 Depth=3
	s_or_b32 exec_lo, exec_lo, s21
	v_cmp_ne_u32_e32 vcc_lo, 0, v3
	s_xor_b32 s16, s7, -1
	s_and_b32 s21, vcc_lo, s16
	s_and_saveexec_b32 s16, s21
	s_cbranch_execz .LBB2_486
; %bb.485:                              ;   in Loop: Header=BB2_416 Depth=3
	s_waitcnt vmcnt(0) lgkmcnt(0)
	s_waitcnt_vscnt null, 0x0
	flat_store_dword v[24:25], v86
.LBB2_486:                              ;   in Loop: Header=BB2_416 Depth=3
	s_or_b32 exec_lo, exec_lo, s16
	v_and_b32_e32 v3, 48, v71
	s_mov_b32 s16, exec_lo
	v_cmpx_ne_u32_e32 0, v3
	s_cbranch_execz .LBB2_415
; %bb.487:                              ;   in Loop: Header=BB2_416 Depth=3
	v_add_co_u32 v38, vcc_lo, v38, 2
	v_add_co_ci_u32_e64 v39, null, 0, v39, vcc_lo
	s_waitcnt vmcnt(0) lgkmcnt(0)
	s_waitcnt_vscnt null, 0x0
	flat_store_dwordx2 v[20:21], v[38:39]
	s_branch .LBB2_415
.LBB2_488:                              ;   in Loop: Header=BB2_47 Depth=1
	v_mul_lo_u32 v3, v37, s25
	v_mul_lo_u32 v10, v36, s28
	v_mad_u64_u32 v[8:9], null, v36, s25, 0
	v_mov_b32_e32 v55, 0
	v_add3_u32 v9, v9, v10, v3
	v_sub_co_u32 v10, vcc_lo, v48, v8
	v_sub_co_ci_u32_e64 v11, null, v49, v9, vcc_lo
	v_cmp_lt_i64_e32 vcc_lo, v[36:37], v[10:11]
	v_cndmask_b32_e32 v11, v10, v36, vcc_lo
	v_max_i32_e32 v3, 0, v11
	v_cmp_lt_i32_e32 vcc_lo, 0, v11
	v_add_nc_u32_e32 v10, 31, v3
	s_and_b32 s16, s57, vcc_lo
	v_lshrrev_b32_e32 v10, 1, v10
	v_and_b32_e32 v50, 0x3ffffff0, v10
	v_mov_b32_e32 v10, 0
	v_max_i32_e32 v50, s45, v50
	s_and_saveexec_b32 s21, s16
	s_cbranch_execz .LBB2_667
; %bb.489:                              ;   in Loop: Header=BB2_47 Depth=1
	v_add_co_u32 v118, vcc_lo, v8, v116
	v_add_co_ci_u32_e64 v119, null, v9, v117, vcc_lo
	v_mov_b32_e32 v55, 0
	s_mov_b32 s63, 1
	s_mov_b32 s62, -1
	s_mov_b32 s61, 0
	s_branch .LBB2_491
.LBB2_490:                              ;   in Loop: Header=BB2_491 Depth=2
	s_or_b32 exec_lo, exec_lo, s16
	v_add_nc_u32_e32 v55, v50, v55
	s_xor_b32 s16, s62, -1
	v_mov_b32_e32 v10, s63
	s_mov_b32 s62, 0
	s_mov_b32 s63, 2
	v_cmp_ge_i32_e32 vcc_lo, v55, v3
	s_or_b32 s16, s16, vcc_lo
	s_and_b32 s16, exec_lo, s16
	s_or_b32 s61, s16, s61
	s_andn2_b32 exec_lo, exec_lo, s61
	s_cbranch_execz .LBB2_666
.LBB2_491:                              ;   Parent Loop BB2_47 Depth=1
                                        ; =>  This Loop Header: Depth=2
                                        ;       Child Loop BB2_499 Depth 3
                                        ;       Child Loop BB2_527 Depth 3
	;; [unrolled: 1-line block ×4, first 2 shown]
                                        ;         Child Loop BB2_570 Depth 4
                                        ;       Child Loop BB2_576 Depth 3
                                        ;         Child Loop BB2_577 Depth 4
                                        ;       Child Loop BB2_584 Depth 3
                                        ;       Child Loop BB2_589 Depth 3
                                        ;         Child Loop BB2_590 Depth 4
                                        ;       Child Loop BB2_602 Depth 3
                                        ;       Child Loop BB2_607 Depth 3
	;; [unrolled: 1-line block ×6, first 2 shown]
	s_and_saveexec_b32 s17, s4
	s_cbranch_execz .LBB2_493
; %bb.492:                              ;   in Loop: Header=BB2_491 Depth=2
	s_trap 2
	ds_read2_b64 v[8:11], v0 offset1:1
	ds_read_b64 v[51:52], v0
	v_ashrrev_i32_e32 v53, 31, v55
	s_waitcnt lgkmcnt(1)
	v_add_co_u32 v8, vcc_lo, v8, v118
	v_add_co_ci_u32_e64 v9, null, v9, v119, vcc_lo
	v_add_co_u32 v10, vcc_lo, v10, v118
	v_add_co_ci_u32_e64 v11, null, v11, v119, vcc_lo
	s_waitcnt lgkmcnt(0)
	v_add_co_u32 v54, vcc_lo, v51, v118
	v_add_co_ci_u32_e64 v64, null, v52, v119, vcc_lo
	v_add_co_u32 v8, vcc_lo, v8, v55
	v_add_co_ci_u32_e64 v9, null, v9, v53, vcc_lo
	;; [unrolled: 2-line block ×3, first 2 shown]
	v_cmp_ne_u64_e32 vcc_lo, 0, v[51:52]
	v_add_co_u32 v10, s16, v10, v55
	v_add_co_ci_u32_e64 v11, null, v11, v53, s16
	v_cndmask_b32_e32 v52, 0, v64, vcc_lo
	v_cndmask_b32_e32 v51, 0, v54, vcc_lo
	ds_write_b64 v0, v[8:9]
	ds_write_b64 v0, v[10:11]
	;; [unrolled: 1-line block ×3, first 2 shown]
.LBB2_493:                              ;   in Loop: Header=BB2_491 Depth=2
	s_or_b32 exec_lo, exec_lo, s17
	v_sub_nc_u32_e32 v8, v3, v55
	v_and_b32_e32 v9, 12, v71
	s_mov_b32 s17, exec_lo
	v_min_i32_e32 v50, v50, v8
	v_cmpx_ne_u32_e32 0, v9
	s_cbranch_execz .LBB2_519
; %bb.494:                              ;   in Loop: Header=BB2_491 Depth=2
	v_and_b32_e32 v53, 8, v71
	s_mov_b32 s18, exec_lo
	s_waitcnt vmcnt(0) lgkmcnt(1)
	v_add_co_u32 v10, vcc_lo, v26, v53
	v_add_co_ci_u32_e64 v11, null, 0, v27, vcc_lo
	v_add_co_u32 v8, vcc_lo, v38, 2
	v_add_co_ci_u32_e64 v9, null, 0, v39, vcc_lo
	v_cmpx_lt_u64_e64 v[10:11], v[8:9]
	s_cbranch_execz .LBB2_506
; %bb.495:                              ;   in Loop: Header=BB2_491 Depth=2
	v_and_b32_e32 v10, 64, v71
	s_mov_b32 s19, 0
	s_mov_b32 s73, 0
                                        ; implicit-def: $sgpr22
                                        ; implicit-def: $sgpr23
                                        ; implicit-def: $sgpr72
	v_cmp_eq_u32_e32 vcc_lo, 0, v10
	s_branch .LBB2_499
.LBB2_496:                              ;   in Loop: Header=BB2_499 Depth=3
	s_waitcnt vmcnt(0) lgkmcnt(0)
	v_add_co_u32 v51, s16, v26, v53
	v_add_co_ci_u32_e64 v52, null, 0, v27, s16
	s_or_b32 s76, s76, exec_lo
	v_cmp_ge_u64_e64 s16, v[51:52], v[8:9]
	s_orn2_b32 s75, s16, exec_lo
.LBB2_497:                              ;   in Loop: Header=BB2_499 Depth=3
	s_or_b32 exec_lo, exec_lo, s78
	s_andn2_b32 s16, s72, exec_lo
	s_and_b32 s72, s76, exec_lo
	s_andn2_b32 s23, s23, exec_lo
	s_and_b32 s75, s75, exec_lo
	s_or_b32 s72, s16, s72
	s_or_b32 s23, s23, s75
.LBB2_498:                              ;   in Loop: Header=BB2_499 Depth=3
	s_or_b32 exec_lo, exec_lo, s74
	s_and_b32 s16, exec_lo, s23
	s_or_b32 s19, s16, s19
	s_andn2_b32 s16, s22, exec_lo
	s_and_b32 s22, s72, exec_lo
	s_or_b32 s22, s16, s22
	s_andn2_b32 exec_lo, exec_lo, s19
	s_cbranch_execz .LBB2_503
.LBB2_499:                              ;   Parent Loop BB2_47 Depth=1
                                        ;     Parent Loop BB2_491 Depth=2
                                        ; =>    This Inner Loop Header: Depth=3
	s_sleep 1
	s_waitcnt vmcnt(0) lgkmcnt(0)
	flat_load_dwordx2 v[26:27], v[20:21] glc dlc
	s_or_b32 s72, s72, exec_lo
	s_or_b32 s23, s23, exec_lo
                                        ; implicit-def: $vgpr10
	s_and_saveexec_b32 s74, vcc_lo
	s_cbranch_execz .LBB2_498
; %bb.500:                              ;   in Loop: Header=BB2_499 Depth=3
	s_cmpk_lt_i32 s73, 0x270f
	s_mov_b32 s75, -1
	s_cselect_b32 s77, -1, 0
	s_cmpk_gt_i32 s73, 0x270e
	s_cbranch_scc0 .LBB2_502
; %bb.501:                              ;   in Loop: Header=BB2_499 Depth=3
	s_trap 2
	ds_read_b64 v[10:11], v0
	s_andn2_b32 s73, s77, exec_lo
	s_mov_b32 s76, 0
	s_waitcnt vmcnt(0) lgkmcnt(0)
	s_waitcnt_vscnt null, 0x0
	flat_load_dword v10, v[10:11] glc dlc
	s_waitcnt vmcnt(0) lgkmcnt(0)
	buffer_gl1_inv
	buffer_gl0_inv
	v_cmp_eq_u32_e64 s16, 0, v10
	s_and_b32 s16, s16, exec_lo
	s_or_b32 s77, s73, s16
	s_mov_b32 s73, 0
	s_and_saveexec_b32 s78, s77
	s_cbranch_execz .LBB2_497
	s_branch .LBB2_496
.LBB2_502:                              ;   in Loop: Header=BB2_499 Depth=3
	s_add_i32 s73, s73, 1
	s_mov_b32 s76, -1
                                        ; implicit-def: $vgpr10
	s_and_saveexec_b32 s78, s77
	s_cbranch_execz .LBB2_497
	s_branch .LBB2_496
.LBB2_503:                              ;   in Loop: Header=BB2_491 Depth=2
	s_or_b32 exec_lo, exec_lo, s19
	s_xor_b32 s16, s22, -1
	s_and_saveexec_b32 s19, s16
	s_xor_b32 s16, exec_lo, s19
	s_cbranch_execz .LBB2_505
; %bb.504:                              ;   in Loop: Header=BB2_491 Depth=2
	v_or_b32_e32 v71, 64, v71
	s_waitcnt vmcnt(0) lgkmcnt(0)
	s_waitcnt_vscnt null, 0x0
	ds_write_b32 v0, v10
	s_trap 2
.LBB2_505:                              ;   in Loop: Header=BB2_491 Depth=2
	s_or_b32 exec_lo, exec_lo, s16
.LBB2_506:                              ;   in Loop: Header=BB2_491 Depth=2
	s_or_b32 exec_lo, exec_lo, s18
	v_and_b32_e32 v10, 0x108, v71
	;;#ASMSTART
	s_wakeup
	;;#ASMEND
	v_cmp_ne_u32_e32 vcc_lo, 0x108, v10
                                        ; implicit-def: $vgpr10_vgpr11
	s_and_saveexec_b32 s16, vcc_lo
	s_xor_b32 s16, exec_lo, s16
; %bb.507:                              ;   in Loop: Header=BB2_491 Depth=2
	v_and_b32_e32 v10, 7, v38
	v_mov_b32_e32 v11, v2
                                        ; implicit-def: $vgpr38_vgpr39
; %bb.508:                              ;   in Loop: Header=BB2_491 Depth=2
	s_andn2_saveexec_b32 s16, s16
	s_cbranch_execz .LBB2_510
; %bb.509:                              ;   in Loop: Header=BB2_491 Depth=2
	v_and_b32_e32 v10, 7, v38
	v_ashrrev_i32_e32 v51, 31, v50
	v_mov_b32_e32 v11, v2
	v_mad_u64_u32 v[38:39], null, v10, 24, v[6:7]
	flat_store_dwordx2 v[38:39], v[50:51] offset:8
.LBB2_510:                              ;   in Loop: Header=BB2_491 Depth=2
	s_or_b32 exec_lo, exec_lo, s16
	v_and_b32_e32 v38, 0x100, v71
	s_mov_b32 s16, -1
	v_cmp_ne_u32_e32 vcc_lo, 0, v38
                                        ; implicit-def: $vgpr38_vgpr39
	s_and_saveexec_b32 s18, vcc_lo
	s_cbranch_execz .LBB2_514
; %bb.511:                              ;   in Loop: Header=BB2_491 Depth=2
	v_mad_u64_u32 v[51:52], null, v10, 24, v[6:7]
	v_mov_b32_e32 v38, v52
	v_mad_u64_u32 v[38:39], null, v11, 24, v[38:39]
	v_mov_b32_e32 v52, v38
	flat_load_dword v38, v[51:52]
	s_waitcnt vmcnt(0) lgkmcnt(0)
	v_cmp_eq_u32_e64 s16, 1, v38
	v_cmp_ne_u32_e32 vcc_lo, 1, v38
                                        ; implicit-def: $vgpr38_vgpr39
	s_and_saveexec_b32 s19, s16
	s_cbranch_execz .LBB2_513
; %bb.512:                              ;   in Loop: Header=BB2_491 Depth=2
	flat_load_dword v38, v[51:52] offset:4 glc dlc
	s_waitcnt vmcnt(0) lgkmcnt(0)
	v_ashrrev_i32_e32 v39, 31, v38
.LBB2_513:                              ;   in Loop: Header=BB2_491 Depth=2
	s_or_b32 exec_lo, exec_lo, s19
	s_orn2_b32 s16, vcc_lo, exec_lo
.LBB2_514:                              ;   in Loop: Header=BB2_491 Depth=2
	s_or_b32 exec_lo, exec_lo, s18
	s_and_saveexec_b32 s18, s16
; %bb.515:                              ;   in Loop: Header=BB2_491 Depth=2
	v_mul_lo_u32 v11, v11, v80
	v_mul_lo_u32 v51, v10, v30
	v_mad_u64_u32 v[38:39], null, v10, v80, 0
	v_add3_u32 v39, v39, v51, v11
; %bb.516:                              ;   in Loop: Header=BB2_491 Depth=2
	s_or_b32 exec_lo, exec_lo, s18
	v_cmp_eq_u32_e32 vcc_lo, 0, v53
	v_and_b32_e32 v52, 0x2000, v71
	s_mov_b32 s16, exec_lo
	v_cndmask_b32_e32 v51, 0xd0, v87, vcc_lo
	v_add_co_u32 v10, vcc_lo, v22, v38
	v_add_co_ci_u32_e64 v11, null, v23, v39, vcc_lo
	v_add_nc_u32_e32 v38, v0, v51
	ds_write_b64 v38, v[10:11] offset:584
	v_cmpx_ne_u32_e32 0, v52
	s_cbranch_execz .LBB2_518
; %bb.517:                              ;   in Loop: Header=BB2_491 Depth=2
	ds_read_b64 v[10:11], v0 offset:872
	s_waitcnt lgkmcnt(0)
	v_add_co_u32 v10, vcc_lo, v10, 1
	v_add_co_ci_u32_e64 v11, null, 0, v11, vcc_lo
	ds_write_b64 v0, v[10:11] offset:872
.LBB2_518:                              ;   in Loop: Header=BB2_491 Depth=2
	s_or_b32 exec_lo, exec_lo, s16
	v_mov_b32_e32 v39, v9
	v_mov_b32_e32 v38, v8
.LBB2_519:                              ;   in Loop: Header=BB2_491 Depth=2
	s_or_b32 exec_lo, exec_lo, s17
	s_and_saveexec_b32 s16, s6
	s_cbranch_execz .LBB2_538
; %bb.520:                              ;   in Loop: Header=BB2_491 Depth=2
	s_and_saveexec_b32 s17, s29
	s_xor_b32 s17, exec_lo, s17
	s_cbranch_execz .LBB2_535
; %bb.521:                              ;   in Loop: Header=BB2_491 Depth=2
	s_and_saveexec_b32 s18, s11
	s_cbranch_execz .LBB2_534
; %bb.522:                              ;   in Loop: Header=BB2_491 Depth=2
	s_mov_b32 s22, exec_lo
	s_mov_b32 s19, exec_lo
	v_mbcnt_lo_u32_b32 v8, s22, 0
	s_waitcnt vmcnt(0) lgkmcnt(0)
	s_waitcnt_vscnt null, 0x0
	buffer_gl1_inv
	buffer_gl0_inv
	v_cmpx_eq_u32_e32 0, v8
	s_cbranch_execz .LBB2_524
; %bb.523:                              ;   in Loop: Header=BB2_491 Depth=2
	s_bcnt1_i32_b32 s22, s22
	v_mov_b32_e32 v9, v2
	v_mov_b32_e32 v8, s22
	ds_add_u64 v0, v[8:9]
	s_trap 2
.LBB2_524:                              ;   in Loop: Header=BB2_491 Depth=2
	s_or_b32 exec_lo, exec_lo, s19
	s_trap 2
	ds_read_b64 v[8:9], v0
	s_waitcnt lgkmcnt(0)
	buffer_gl0_inv
	v_add_co_u32 v12, vcc_lo, v12, v81
	v_add_co_ci_u32_e64 v13, null, 0, v13, vcc_lo
	s_mov_b32 s19, exec_lo
	v_cmpx_lt_u64_e64 v[8:9], v[12:13]
	s_cbranch_execz .LBB2_533
; %bb.525:                              ;   in Loop: Header=BB2_491 Depth=2
	s_mov_b32 s22, 0
	s_mov_b32 s73, 0
                                        ; implicit-def: $sgpr23
                                        ; implicit-def: $sgpr72
	s_inst_prefetch 0x1
	s_branch .LBB2_527
	.p2align	6
.LBB2_526:                              ;   in Loop: Header=BB2_527 Depth=3
	s_or_b32 exec_lo, exec_lo, s75
	s_and_b32 s74, exec_lo, s76
	s_or_b32 s22, s74, s22
	s_andn2_b32 s23, s23, exec_lo
	s_and_b32 s74, s72, exec_lo
	s_or_b32 s23, s23, s74
	s_andn2_b32 exec_lo, exec_lo, s22
	s_cbranch_execz .LBB2_531
.LBB2_527:                              ;   Parent Loop BB2_47 Depth=1
                                        ;     Parent Loop BB2_491 Depth=2
                                        ; =>    This Inner Loop Header: Depth=3
	s_add_i32 s73, s73, 1
	s_cmpk_lg_i32 s73, 0x2710
	s_cselect_b32 s74, -1, 0
	s_and_b32 vcc_lo, exec_lo, s74
	s_cbranch_vccz .LBB2_529
; %bb.528:                              ;   in Loop: Header=BB2_527 Depth=3
	s_mov_b32 s76, -1
	s_or_b32 s72, s72, exec_lo
	s_and_saveexec_b32 s75, s74
	s_cbranch_execz .LBB2_526
	s_branch .LBB2_530
	.p2align	6
.LBB2_529:                              ;   in Loop: Header=BB2_527 Depth=3
	s_trap 2
	ds_read_b64 v[8:9], v0
	s_andn2_b32 s74, s74, exec_lo
	s_mov_b32 s73, 0
	s_waitcnt lgkmcnt(0)
	flat_load_dword v8, v[8:9] glc dlc
	s_waitcnt vmcnt(0) lgkmcnt(0)
	buffer_gl1_inv
	buffer_gl0_inv
	v_cmp_eq_u32_e32 vcc_lo, 0, v8
	s_and_b32 s75, vcc_lo, exec_lo
	s_or_b32 s74, s74, s75
	s_mov_b32 s76, -1
	s_or_b32 s72, s72, exec_lo
	s_and_saveexec_b32 s75, s74
	s_cbranch_execz .LBB2_526
.LBB2_530:                              ;   in Loop: Header=BB2_527 Depth=3
	s_sleep 1
	s_trap 2
	ds_read_b64 v[8:9], v0
	s_waitcnt lgkmcnt(0)
	buffer_gl0_inv
	s_andn2_b32 s72, s72, exec_lo
	v_cmp_ge_u64_e32 vcc_lo, v[8:9], v[12:13]
	s_orn2_b32 s76, vcc_lo, exec_lo
	s_branch .LBB2_526
.LBB2_531:                              ;   in Loop: Header=BB2_491 Depth=2
	s_inst_prefetch 0x2
	s_or_b32 exec_lo, exec_lo, s22
	s_and_saveexec_b32 s22, s23
	s_xor_b32 s22, exec_lo, s22
	s_cbranch_execz .LBB2_533
; %bb.532:                              ;   in Loop: Header=BB2_491 Depth=2
	ds_write_b32 v0, v86
	s_trap 2
.LBB2_533:                              ;   in Loop: Header=BB2_491 Depth=2
	s_or_b32 exec_lo, exec_lo, s19
	;;#ASMSTART
	s_wakeup
	;;#ASMEND
.LBB2_534:                              ;   in Loop: Header=BB2_491 Depth=2
	s_or_b32 exec_lo, exec_lo, s18
.LBB2_535:                              ;   in Loop: Header=BB2_491 Depth=2
	s_andn2_saveexec_b32 s17, s17
	s_cbranch_execz .LBB2_537
; %bb.536:                              ;   in Loop: Header=BB2_491 Depth=2
	s_waitcnt vmcnt(0) lgkmcnt(0)
	s_waitcnt_vscnt null, 0x0
	buffer_gl1_inv
	buffer_gl0_inv
	s_barrier
.LBB2_537:                              ;   in Loop: Header=BB2_491 Depth=2
	s_or_b32 exec_lo, exec_lo, s17
.LBB2_538:                              ;   in Loop: Header=BB2_491 Depth=2
	s_or_b32 exec_lo, exec_lo, s16
	s_trap 2
	ds_read_b32 v8, v0
	v_and_b32_e32 v9, 0x4000, v71
	s_xor_b32 s16, s5, -1
	v_cmp_ne_u32_e32 vcc_lo, 0, v9
	s_and_b32 s17, s16, vcc_lo
	s_and_saveexec_b32 s16, s17
	s_cbranch_execz .LBB2_557
; %bb.539:                              ;   in Loop: Header=BB2_491 Depth=2
	s_and_saveexec_b32 s17, s29
	s_xor_b32 s17, exec_lo, s17
	s_cbranch_execz .LBB2_554
; %bb.540:                              ;   in Loop: Header=BB2_491 Depth=2
	s_and_saveexec_b32 s18, s11
	s_cbranch_execz .LBB2_553
; %bb.541:                              ;   in Loop: Header=BB2_491 Depth=2
	s_mov_b32 s22, exec_lo
	s_mov_b32 s19, exec_lo
	v_mbcnt_lo_u32_b32 v9, s22, 0
	s_waitcnt vmcnt(0) lgkmcnt(0)
	s_waitcnt_vscnt null, 0x0
	buffer_gl1_inv
	buffer_gl0_inv
	v_cmpx_eq_u32_e32 0, v9
	s_cbranch_execz .LBB2_543
; %bb.542:                              ;   in Loop: Header=BB2_491 Depth=2
	s_bcnt1_i32_b32 s22, s22
	v_mov_b32_e32 v10, v2
	v_mov_b32_e32 v9, s22
	ds_add_u64 v0, v[9:10]
	s_trap 2
.LBB2_543:                              ;   in Loop: Header=BB2_491 Depth=2
	s_or_b32 exec_lo, exec_lo, s19
	s_trap 2
	ds_read_b64 v[9:10], v0
	s_waitcnt lgkmcnt(0)
	buffer_gl0_inv
	v_add_co_u32 v12, vcc_lo, v12, v81
	v_add_co_ci_u32_e64 v13, null, 0, v13, vcc_lo
	s_mov_b32 s19, exec_lo
	v_cmpx_lt_u64_e64 v[9:10], v[12:13]
	s_cbranch_execz .LBB2_552
; %bb.544:                              ;   in Loop: Header=BB2_491 Depth=2
	s_mov_b32 s22, 0
	s_mov_b32 s73, 0
                                        ; implicit-def: $sgpr23
                                        ; implicit-def: $sgpr72
	s_inst_prefetch 0x1
	s_branch .LBB2_546
	.p2align	6
.LBB2_545:                              ;   in Loop: Header=BB2_546 Depth=3
	s_or_b32 exec_lo, exec_lo, s75
	s_and_b32 s74, exec_lo, s76
	s_or_b32 s22, s74, s22
	s_andn2_b32 s23, s23, exec_lo
	s_and_b32 s74, s72, exec_lo
	s_or_b32 s23, s23, s74
	s_andn2_b32 exec_lo, exec_lo, s22
	s_cbranch_execz .LBB2_550
.LBB2_546:                              ;   Parent Loop BB2_47 Depth=1
                                        ;     Parent Loop BB2_491 Depth=2
                                        ; =>    This Inner Loop Header: Depth=3
	s_add_i32 s73, s73, 1
	s_cmpk_lg_i32 s73, 0x2710
	s_cselect_b32 s74, -1, 0
	s_and_b32 vcc_lo, exec_lo, s74
	s_cbranch_vccz .LBB2_548
; %bb.547:                              ;   in Loop: Header=BB2_546 Depth=3
	s_mov_b32 s76, -1
	s_or_b32 s72, s72, exec_lo
	s_and_saveexec_b32 s75, s74
	s_cbranch_execz .LBB2_545
	s_branch .LBB2_549
	.p2align	6
.LBB2_548:                              ;   in Loop: Header=BB2_546 Depth=3
	s_trap 2
	ds_read_b64 v[9:10], v0
	s_andn2_b32 s74, s74, exec_lo
	s_mov_b32 s73, 0
	s_waitcnt lgkmcnt(0)
	flat_load_dword v9, v[9:10] glc dlc
	s_waitcnt vmcnt(0) lgkmcnt(0)
	buffer_gl1_inv
	buffer_gl0_inv
	v_cmp_eq_u32_e32 vcc_lo, 0, v9
	s_and_b32 s75, vcc_lo, exec_lo
	s_or_b32 s74, s74, s75
	s_mov_b32 s76, -1
	s_or_b32 s72, s72, exec_lo
	s_and_saveexec_b32 s75, s74
	s_cbranch_execz .LBB2_545
.LBB2_549:                              ;   in Loop: Header=BB2_546 Depth=3
	s_sleep 1
	s_trap 2
	ds_read_b64 v[9:10], v0
	s_waitcnt lgkmcnt(0)
	buffer_gl0_inv
	s_andn2_b32 s72, s72, exec_lo
	v_cmp_ge_u64_e32 vcc_lo, v[9:10], v[12:13]
	s_orn2_b32 s76, vcc_lo, exec_lo
	s_branch .LBB2_545
.LBB2_550:                              ;   in Loop: Header=BB2_491 Depth=2
	s_inst_prefetch 0x2
	s_or_b32 exec_lo, exec_lo, s22
	s_and_saveexec_b32 s22, s23
	s_xor_b32 s22, exec_lo, s22
	s_cbranch_execz .LBB2_552
; %bb.551:                              ;   in Loop: Header=BB2_491 Depth=2
	ds_write_b32 v0, v86
	s_trap 2
.LBB2_552:                              ;   in Loop: Header=BB2_491 Depth=2
	s_or_b32 exec_lo, exec_lo, s19
	;;#ASMSTART
	s_wakeup
	;;#ASMEND
.LBB2_553:                              ;   in Loop: Header=BB2_491 Depth=2
	s_or_b32 exec_lo, exec_lo, s18
.LBB2_554:                              ;   in Loop: Header=BB2_491 Depth=2
	s_andn2_saveexec_b32 s17, s17
	s_cbranch_execz .LBB2_556
; %bb.555:                              ;   in Loop: Header=BB2_491 Depth=2
	s_waitcnt vmcnt(0) lgkmcnt(0)
	s_waitcnt_vscnt null, 0x0
	buffer_gl1_inv
	buffer_gl0_inv
	s_barrier
.LBB2_556:                              ;   in Loop: Header=BB2_491 Depth=2
	s_or_b32 exec_lo, exec_lo, s17
.LBB2_557:                              ;   in Loop: Header=BB2_491 Depth=2
	s_or_b32 exec_lo, exec_lo, s16
	s_trap 2
	ds_read_b64 v[51:52], v0
	s_waitcnt lgkmcnt(0)
	v_cmp_eq_u64_e32 vcc_lo, 0, v[51:52]
	s_cbranch_vccnz .LBB2_566
; %bb.558:                              ;   in Loop: Header=BB2_491 Depth=2
	s_trap 2
	ds_read_b64 v[53:54], v0
	s_waitcnt lgkmcnt(0)
	v_cmp_eq_u64_e32 vcc_lo, 0, v[53:54]
	s_cbranch_vccnz .LBB2_566
; %bb.559:                              ;   in Loop: Header=BB2_491 Depth=2
	s_trap 2
	ds_read_b64 v[64:65], v0
	v_cmp_eq_u32_e64 s16, 0, v8
	v_cndmask_b32_e64 v40, 0, v50, s16
	s_mov_b32 s16, -1
	s_waitcnt lgkmcnt(0)
	v_cmp_ne_u64_e32 vcc_lo, 0, v[64:65]
	v_readfirstlane_b32 s72, v64
	s_cbranch_vccz .LBB2_593
; %bb.560:                              ;   in Loop: Header=BB2_491 Depth=2
	s_and_saveexec_b32 s17, s14
	s_cbranch_execz .LBB2_562
; %bb.561:                              ;   in Loop: Header=BB2_491 Depth=2
	ds_read_b32 v8, v0 offset:720
	s_waitcnt lgkmcnt(0)
	v_and_b32_e32 v8, 15, v8
	v_cmp_eq_u32_e32 vcc_lo, 0, v8
	s_orn2_b32 s16, vcc_lo, exec_lo
.LBB2_562:                              ;   in Loop: Header=BB2_491 Depth=2
	s_or_b32 exec_lo, exec_lo, s17
	s_and_saveexec_b32 s17, s14
	s_cbranch_execz .LBB2_564
; %bb.563:                              ;   in Loop: Header=BB2_491 Depth=2
	ds_read_b32 v8, v0 offset:784
	s_waitcnt lgkmcnt(0)
	v_and_b32_e32 v8, 15, v8
	v_cmp_eq_u32_e32 vcc_lo, 0, v8
	s_and_b32 s18, s16, vcc_lo
	s_andn2_b32 s16, s16, exec_lo
	s_and_b32 s18, s18, exec_lo
	s_or_b32 s16, s16, s18
.LBB2_564:                              ;   in Loop: Header=BB2_491 Depth=2
	s_or_b32 exec_lo, exec_lo, s17
	s_xor_b32 s16, s16, -1
	v_mov_b32_e32 v68, 0
	v_cndmask_b32_e64 v8, 0, 1, s16
	v_mov_b32_e32 v69, v40
	v_mov_b32_e32 v45, v0
	s_mov_b32 s17, -1
	v_cmp_ne_u32_e32 vcc_lo, 0, v8
	s_cbranch_vccz .LBB2_567
; %bb.565:                              ;   in Loop: Header=BB2_491 Depth=2
	s_and_saveexec_b32 s22, s17
	s_cbranch_execnz .LBB2_582
	s_branch .LBB2_592
.LBB2_566:                              ;   in Loop: Header=BB2_491 Depth=2
	s_mov_b32 s16, 0
	s_and_saveexec_b32 s17, s6
	s_cbranch_execnz .LBB2_621
	s_branch .LBB2_639
.LBB2_567:                              ;   in Loop: Header=BB2_491 Depth=2
	v_ashrrev_i32_e32 v8, 31, v40
	v_sub_nc_u32_e32 v42, v40, v85
	s_mov_b32 s19, exec_lo
	v_lshrrev_b32_e32 v8, 23, v8
	v_add_nc_u32_e32 v8, v40, v8
	v_and_b32_e32 v41, 0xfffffe00, v8
	v_ashrrev_i32_e32 v8, 9, v8
	v_sub_nc_u32_e32 v43, v40, v41
	v_sub_nc_u32_e32 v8, v8, v83
	v_cmp_lt_i32_e64 s16, 15, v43
	v_add_co_ci_u32_e64 v44, null, 0, v8, s16
	v_cmpx_lt_i32_e32 15, v42
	s_cbranch_execz .LBB2_573
; %bb.568:                              ;   in Loop: Header=BB2_491 Depth=2
	s_trap 2
	ds_read_b64 v[8:9], v0
	v_add_co_u32 v45, vcc_lo, v53, v85
	v_add_co_ci_u32_e64 v46, null, 0, v54, vcc_lo
	v_add_co_u32 v47, vcc_lo, v64, v85
	v_add_co_ci_u32_e64 v56, null, 0, v65, vcc_lo
	;; [unrolled: 2-line block ×3, first 2 shown]
	s_and_b32 s74, s72, 0xff
	s_mov_b32 s73, 0
	s_mul_i32 s74, s74, 0x1010101
	s_waitcnt lgkmcnt(0)
	v_add_co_u32 v68, vcc_lo, v8, v85
	v_add_co_ci_u32_e64 v69, null, 0, v9, vcc_lo
.LBB2_569:                              ;   Parent Loop BB2_47 Depth=1
                                        ;     Parent Loop BB2_491 Depth=2
                                        ; =>    This Loop Header: Depth=3
                                        ;         Child Loop BB2_570 Depth 4
	global_load_dwordx4 v[8:11], v[68:69], off slc
	global_load_dwordx4 v[57:60], v[66:67], off slc
	s_mov_b64 s[22:23], 0
	s_mov_b32 s75, -1
	s_waitcnt vmcnt(1)
	v_xor3_b32 v61, s74, -1, v8
	v_xnor_b32_e32 v62, s74, v9
	v_xnor_b32_e32 v63, s74, v10
	;; [unrolled: 1-line block ×3, first 2 shown]
	s_waitcnt vmcnt(0)
	v_xor_b32_e32 v73, s74, v57
	v_xor_b32_e32 v74, s74, v58
	;; [unrolled: 1-line block ×4, first 2 shown]
	v_and_b32_e32 v77, 0xff00ff, v61
	v_lshrrev_b32_e32 v61, 8, v61
	v_and_b32_e32 v78, 0xff00ff, v62
	v_lshrrev_b32_e32 v62, 8, v62
	;; [unrolled: 2-line block ×3, first 2 shown]
	v_and_b32_e32 v88, 0xff00ff, v72
	v_and_b32_e32 v89, 0xff00ff, v73
	v_lshrrev_b32_e32 v73, 8, v73
	v_and_b32_e32 v90, 0xff00ff, v74
	v_lshrrev_b32_e32 v74, 8, v74
	;; [unrolled: 2-line block ×4, first 2 shown]
	v_lshrrev_b32_e32 v76, 8, v76
	v_and_b32_e32 v61, 0xff00ff, v61
	v_and_b32_e32 v62, 0xff00ff, v62
	;; [unrolled: 1-line block ×3, first 2 shown]
	v_add3_u32 v77, v89, v77, 0x1010101
	v_and_b32_e32 v73, 0xff00ff, v73
	v_add3_u32 v78, v90, v78, 0x1010101
	v_and_b32_e32 v74, 0xff00ff, v74
	;; [unrolled: 2-line block ×4, first 2 shown]
	v_and_b32_e32 v76, 0xff00ff, v76
	v_add3_u32 v61, v73, v61, 0x1010101
	v_lshrrev_b32_e32 v73, 8, v77
	v_add3_u32 v62, v74, v62, 0x1010101
	v_lshrrev_b32_e32 v74, 8, v78
	;; [unrolled: 2-line block ×3, first 2 shown]
	v_lshrrev_b32_e32 v77, 8, v88
	v_add3_u32 v72, v76, v72, 0x1010101
	v_and_b32_e32 v73, 0x10001, v73
	v_and_b32_e32 v74, 0x10001, v74
	;; [unrolled: 1-line block ×4, first 2 shown]
	v_and_or_b32 v61, 0x1000100, v61, v73
	v_and_or_b32 v62, 0x1000100, v62, v74
	v_and_or_b32 v63, 0x1000100, v63, v75
	v_and_or_b32 v72, 0x1000100, v72, v76
	v_mul_lo_u32 v61, 0xff, v61
	v_mul_lo_u32 v62, 0xff, v62
	;; [unrolled: 1-line block ×4, first 2 shown]
	v_bfi_b32 v8, v61, v57, v8
	v_bfi_b32 v9, v62, v58, v9
	;; [unrolled: 1-line block ×4, first 2 shown]
	.p2align	6
.LBB2_570:                              ;   Parent Loop BB2_47 Depth=1
                                        ;     Parent Loop BB2_491 Depth=2
                                        ;       Parent Loop BB2_569 Depth=3
                                        ; =>      This Inner Loop Header: Depth=4
	s_cmp_eq_u32 s22, 1
	s_cselect_b32 vcc_lo, -1, 0
	s_cmp_eq_u32 s22, 0
	v_cndmask_b32_e32 v57, v45, v47, vcc_lo
	v_cndmask_b32_e32 v58, v46, v56, vcc_lo
	s_mov_b64 s[22:23], 1
	v_add_co_u32 v59, s17, 0x200, v57
	v_add_co_ci_u32_e64 v60, null, 0, v58, s17
	s_cselect_b32 s17, -1, 0
	v_cndmask_b32_e32 v47, v47, v59, vcc_lo
	v_cndmask_b32_e64 v45, v45, v59, s17
	v_cndmask_b32_e32 v56, v56, v60, vcc_lo
	v_cndmask_b32_e64 v46, v46, v60, s17
	s_and_b32 s18, exec_lo, s75
	s_mov_b32 s75, 0
	s_mov_b32 vcc_lo, s18
	global_store_dwordx4 v[57:58], v[8:11], off glc slc
	s_cbranch_vccnz .LBB2_570
; %bb.571:                              ;   in Loop: Header=BB2_569 Depth=3
	v_add_co_u32 v66, vcc_lo, v66, v114
	v_sub_nc_u32_e32 v42, v42, v98
	v_add_co_ci_u32_e64 v67, null, v67, v115, vcc_lo
	v_add_co_u32 v68, vcc_lo, v68, v114
	v_add_co_ci_u32_e64 v69, null, v69, v115, vcc_lo
	v_add_co_u32 v45, vcc_lo, v45, v101
	v_add_co_ci_u32_e64 v46, null, v46, v103, vcc_lo
	v_cmp_gt_i32_e32 vcc_lo, 16, v42
	v_add_co_u32 v47, s17, v47, v101
	v_add_co_ci_u32_e64 v56, null, v56, v103, s17
	v_sub_nc_u32_e32 v44, v44, v81
	s_or_b32 s73, vcc_lo, s73
	s_andn2_b32 exec_lo, exec_lo, s73
	s_cbranch_execnz .LBB2_569
; %bb.572:                              ;   in Loop: Header=BB2_491 Depth=2
	s_or_b32 exec_lo, exec_lo, s73
.LBB2_573:                              ;   in Loop: Header=BB2_491 Depth=2
	s_or_b32 exec_lo, exec_lo, s19
	v_and_b32_e32 v8, 15, v40
	v_mov_b32_e32 v68, 0
	s_mov_b32 s17, 0
	s_mov_b32 s19, exec_lo
                                        ; implicit-def: $vgpr69
                                        ; implicit-def: $vgpr45
	v_cndmask_b32_e64 v42, v43, v8, s16
	v_cmpx_ne_u32_e32 0, v42
	s_cbranch_execz .LBB2_581
; %bb.574:                              ;   in Loop: Header=BB2_491 Depth=2
	v_cmp_lt_i32_e32 vcc_lo, 0, v44
	v_ashrrev_i32_e32 v11, 31, v42
	s_mov_b32 s73, exec_lo
	v_cndmask_b32_e32 v9, 0, v81, vcc_lo
	v_lshrrev_b32_e32 v11, 23, v11
	v_sub_nc_u32_e32 v9, v9, v44
	v_add_nc_u32_e32 v11, v42, v11
	v_lshl_or_b32 v9, v9, 5, v82
	v_and_b32_e32 v45, 0xfffffe00, v11
	v_ashrrev_i32_e32 v11, 9, v11
	v_ashrrev_i32_e32 v10, 31, v9
	v_lshrrev_b32_e32 v10, 27, v10
	v_add_nc_u32_e32 v10, v9, v10
	v_and_b32_e32 v66, 0xffffffe0, v10
	v_sub_nc_u32_e32 v44, v9, v66
	v_ashrrev_i32_e32 v9, 5, v10
	v_sub_nc_u32_e32 v66, v43, v8
	v_sub_nc_u32_e32 v43, v42, v45
	v_lshlrev_b32_e32 v10, 4, v44
	v_lshl_add_u32 v8, v9, 9, v10
	v_cndmask_b32_e64 v10, 0, v66, s16
	v_cmp_lt_i32_e64 s16, 15, v43
	v_sub_nc_u32_e32 v47, v42, v8
	v_add_nc_u32_e32 v41, v10, v41
	v_add_co_ci_u32_e64 v11, null, 0, v11, s16
	v_sub_nc_u32_e32 v46, v11, v9
	v_cmpx_lt_i32_e32 15, v47
	s_cbranch_execz .LBB2_580
; %bb.575:                              ;   in Loop: Header=BB2_491 Depth=2
	s_trap 2
	ds_read_b64 v[9:10], v0
	v_add_nc_u32_e32 v8, v8, v41
	s_and_b32 s75, s72, 0xff
	s_mov_b32 s74, 0
	s_mul_i32 s75, s75, 0x1010101
	v_ashrrev_i32_e32 v11, 31, v8
	v_add_co_u32 v56, vcc_lo, v8, v53
	v_add_co_ci_u32_e64 v57, null, v11, v54, vcc_lo
	v_add_co_u32 v58, vcc_lo, v8, v64
	v_add_co_ci_u32_e64 v59, null, v11, v65, vcc_lo
	;; [unrolled: 2-line block ×3, first 2 shown]
	s_waitcnt lgkmcnt(0)
	v_add_co_u32 v68, vcc_lo, v9, v8
	v_add_co_ci_u32_e64 v69, null, v10, v11, vcc_lo
.LBB2_576:                              ;   Parent Loop BB2_47 Depth=1
                                        ;     Parent Loop BB2_491 Depth=2
                                        ; =>    This Loop Header: Depth=3
                                        ;         Child Loop BB2_577 Depth 4
	global_load_dwordx4 v[8:11], v[68:69], off slc
	global_load_dwordx4 v[60:63], v[66:67], off slc
	s_mov_b64 s[22:23], 0
	s_mov_b32 s76, -1
	s_waitcnt vmcnt(1)
	v_xor3_b32 v72, s75, -1, v8
	v_xnor_b32_e32 v73, s75, v9
	v_xnor_b32_e32 v74, s75, v10
	;; [unrolled: 1-line block ×3, first 2 shown]
	s_waitcnt vmcnt(0)
	v_xor_b32_e32 v76, s75, v60
	v_xor_b32_e32 v77, s75, v61
	;; [unrolled: 1-line block ×4, first 2 shown]
	v_and_b32_e32 v88, 0xff00ff, v72
	v_lshrrev_b32_e32 v72, 8, v72
	v_and_b32_e32 v89, 0xff00ff, v73
	v_lshrrev_b32_e32 v73, 8, v73
	;; [unrolled: 2-line block ×3, first 2 shown]
	v_and_b32_e32 v91, 0xff00ff, v75
	v_and_b32_e32 v92, 0xff00ff, v76
	v_lshrrev_b32_e32 v76, 8, v76
	v_and_b32_e32 v93, 0xff00ff, v77
	v_lshrrev_b32_e32 v77, 8, v77
	;; [unrolled: 2-line block ×4, first 2 shown]
	v_lshrrev_b32_e32 v79, 8, v79
	v_and_b32_e32 v72, 0xff00ff, v72
	v_and_b32_e32 v73, 0xff00ff, v73
	v_and_b32_e32 v74, 0xff00ff, v74
	v_add3_u32 v88, v92, v88, 0x1010101
	v_and_b32_e32 v76, 0xff00ff, v76
	v_add3_u32 v89, v93, v89, 0x1010101
	v_and_b32_e32 v77, 0xff00ff, v77
	;; [unrolled: 2-line block ×4, first 2 shown]
	v_and_b32_e32 v79, 0xff00ff, v79
	v_add3_u32 v72, v76, v72, 0x1010101
	v_lshrrev_b32_e32 v76, 8, v88
	v_add3_u32 v73, v77, v73, 0x1010101
	v_lshrrev_b32_e32 v77, 8, v89
	v_add3_u32 v74, v78, v74, 0x1010101
	v_lshrrev_b32_e32 v78, 8, v90
	v_lshrrev_b32_e32 v88, 8, v91
	v_add3_u32 v75, v79, v75, 0x1010101
	v_and_b32_e32 v76, 0x10001, v76
	v_and_b32_e32 v77, 0x10001, v77
	;; [unrolled: 1-line block ×4, first 2 shown]
	v_and_or_b32 v72, 0x1000100, v72, v76
	v_and_or_b32 v73, 0x1000100, v73, v77
	;; [unrolled: 1-line block ×4, first 2 shown]
	v_mul_lo_u32 v72, 0xff, v72
	v_mul_lo_u32 v73, 0xff, v73
	;; [unrolled: 1-line block ×4, first 2 shown]
	v_bfi_b32 v8, v72, v60, v8
	v_bfi_b32 v9, v73, v61, v9
	;; [unrolled: 1-line block ×4, first 2 shown]
	.p2align	6
.LBB2_577:                              ;   Parent Loop BB2_47 Depth=1
                                        ;     Parent Loop BB2_491 Depth=2
                                        ;       Parent Loop BB2_576 Depth=3
                                        ; =>      This Inner Loop Header: Depth=4
	s_cmp_eq_u32 s22, 1
	s_cselect_b32 vcc_lo, -1, 0
	s_cmp_eq_u32 s22, 0
	v_cndmask_b32_e32 v60, v56, v58, vcc_lo
	v_cndmask_b32_e32 v61, v57, v59, vcc_lo
	s_mov_b64 s[22:23], 1
	v_add_co_u32 v62, s17, 0x200, v60
	v_add_co_ci_u32_e64 v63, null, 0, v61, s17
	s_cselect_b32 s17, -1, 0
	v_cndmask_b32_e32 v58, v58, v62, vcc_lo
	v_cndmask_b32_e64 v56, v56, v62, s17
	v_cndmask_b32_e32 v59, v59, v63, vcc_lo
	v_cndmask_b32_e64 v57, v57, v63, s17
	s_and_b32 s18, exec_lo, s76
	s_mov_b32 s76, 0
	s_mov_b32 vcc_lo, s18
	global_store_dwordx4 v[60:61], v[8:11], off glc slc
	s_cbranch_vccnz .LBB2_577
; %bb.578:                              ;   in Loop: Header=BB2_576 Depth=3
	v_add_co_u32 v66, vcc_lo, v66, v114
	v_sub_nc_u32_e32 v47, v47, v98
	v_add_co_ci_u32_e64 v67, null, v67, v115, vcc_lo
	v_add_co_u32 v68, vcc_lo, v68, v114
	v_add_co_ci_u32_e64 v69, null, v69, v115, vcc_lo
	v_add_co_u32 v56, vcc_lo, v56, v101
	v_add_co_ci_u32_e64 v57, null, v57, v103, vcc_lo
	v_cmp_gt_i32_e32 vcc_lo, 16, v47
	v_add_co_u32 v58, s17, v58, v101
	v_add_co_ci_u32_e64 v59, null, v59, v103, s17
	v_sub_nc_u32_e32 v46, v46, v81
	s_or_b32 s74, vcc_lo, s74
	s_andn2_b32 exec_lo, exec_lo, s74
	s_cbranch_execnz .LBB2_576
; %bb.579:                              ;   in Loop: Header=BB2_491 Depth=2
	s_or_b32 exec_lo, exec_lo, s74
.LBB2_580:                              ;   in Loop: Header=BB2_491 Depth=2
	s_or_b32 exec_lo, exec_lo, s73
	v_and_b32_e32 v8, 15, v42
	v_cmp_lt_i32_e32 vcc_lo, 0, v46
	v_sub_nc_u32_e32 v9, v43, v8
	v_cndmask_b32_e32 v10, 0, v81, vcc_lo
	v_cndmask_b32_e64 v69, v43, v8, s16
	v_cndmask_b32_e64 v8, 0, v9, s16
	v_sub_nc_u32_e32 v9, v10, v46
	v_cmp_ne_u32_e32 vcc_lo, 0, v69
	v_add3_u32 v68, v45, v41, v8
	v_lshl_add_u32 v45, v9, 5, v44
	s_and_b32 s17, vcc_lo, exec_lo
.LBB2_581:                              ;   in Loop: Header=BB2_491 Depth=2
	s_or_b32 exec_lo, exec_lo, s19
	s_and_saveexec_b32 s22, s17
	s_cbranch_execz .LBB2_592
.LBB2_582:                              ;   in Loop: Header=BB2_491 Depth=2
	v_ashrrev_i32_e32 v8, 31, v45
	v_ashrrev_i32_e32 v9, 31, v69
	s_mov_b32 s17, exec_lo
	v_lshrrev_b32_e32 v8, 27, v8
	v_add_nc_u32_sdwa v9, v69, v9 dst_sel:DWORD dst_unused:UNUSED_PAD src0_sel:DWORD src1_sel:BYTE_3
	v_add_nc_u32_e32 v8, v45, v8
	v_ashrrev_i32_e32 v43, 8, v9
	v_ashrrev_i32_e32 v41, 5, v8
	v_sub_nc_u32_e32 v42, v43, v41
	v_cmpx_lt_i32_e32 0, v42
	s_cbranch_execz .LBB2_586
; %bb.583:                              ;   in Loop: Header=BB2_491 Depth=2
	v_and_b32_e32 v8, 0xffffffe0, v8
	s_trap 2
	ds_read_b64 v[66:67], v0
	v_lshlrev_b32_e32 v9, 8, v41
	s_and_b32 s19, s72, 0xff
	v_sub_nc_u32_e32 v8, v45, v8
	s_mov_b32 s18, 0
	v_add3_u32 v44, v68, v8, v9
	v_ashrrev_i32_e32 v46, 31, v44
	v_add_co_u32 v8, vcc_lo, v44, v53
	v_add_co_ci_u32_e64 v9, null, v46, v54, vcc_lo
	v_add_co_u32 v10, vcc_lo, v44, v64
	v_add_co_ci_u32_e64 v11, null, v46, v65, vcc_lo
	;; [unrolled: 2-line block ×3, first 2 shown]
	s_waitcnt lgkmcnt(0)
	v_add_co_u32 v66, vcc_lo, v66, v44
	v_add_co_ci_u32_e64 v67, null, v67, v46, vcc_lo
.LBB2_584:                              ;   Parent Loop BB2_47 Depth=1
                                        ;     Parent Loop BB2_491 Depth=2
                                        ; =>    This Inner Loop Header: Depth=3
	flat_load_ubyte v44, v[64:65] slc
	flat_load_ubyte v46, v[66:67] slc
	flat_load_ubyte v47, v[64:65] offset:32 slc
	flat_load_ubyte v56, v[66:67] offset:32 slc
	flat_load_ubyte v57, v[64:65] offset:64 slc
	flat_load_ubyte v58, v[66:67] offset:64 slc
	flat_load_ubyte v59, v[64:65] offset:96 slc
	flat_load_ubyte v60, v[66:67] offset:96 slc
	flat_load_ubyte v61, v[64:65] offset:128 slc
	flat_load_ubyte v62, v[66:67] offset:128 slc
	flat_load_ubyte v63, v[64:65] offset:160 slc
	flat_load_ubyte v72, v[66:67] offset:160 slc
	flat_load_ubyte v73, v[64:65] offset:192 slc
	flat_load_ubyte v74, v[66:67] offset:192 slc
	flat_load_ubyte v75, v[64:65] offset:224 slc
	flat_load_ubyte v76, v[66:67] offset:224 slc
	v_sub_nc_u32_e32 v42, v42, v81
	v_add_co_u32 v64, vcc_lo, v64, v99
	v_add_co_ci_u32_e64 v65, null, 0, v65, vcc_lo
	v_add_co_u32 v66, vcc_lo, v66, v99
	v_add_co_ci_u32_e64 v67, null, 0, v67, vcc_lo
	v_cmp_gt_i32_e32 vcc_lo, 1, v42
	s_or_b32 s18, vcc_lo, s18
	s_waitcnt vmcnt(15) lgkmcnt(15)
	v_xor_b32_e32 v77, s19, v44
	s_waitcnt vmcnt(14) lgkmcnt(14)
	v_xor_b32_e32 v78, s19, v46
	;; [unrolled: 2-line block ×6, first 2 shown]
	v_cmp_lt_u16_e64 s16, v77, v78
	s_waitcnt vmcnt(9) lgkmcnt(9)
	v_xor_b32_e32 v91, s19, v59
	s_waitcnt vmcnt(8) lgkmcnt(8)
	v_xor_b32_e32 v92, s19, v60
	;; [unrolled: 2-line block ×4, first 2 shown]
	v_cndmask_b32_e64 v44, v46, v44, s16
	v_cmp_lt_u16_e64 s16, v79, v88
	s_waitcnt vmcnt(5) lgkmcnt(5)
	v_xor_b32_e32 v95, s19, v63
	s_waitcnt vmcnt(4) lgkmcnt(4)
	v_xor_b32_e32 v104, s19, v72
	;; [unrolled: 2-line block ×4, first 2 shown]
	v_cndmask_b32_e64 v46, v56, v47, s16
	v_cmp_lt_u16_e64 s16, v89, v90
	s_waitcnt vmcnt(1) lgkmcnt(1)
	v_xor_b32_e32 v107, s19, v75
	s_waitcnt vmcnt(0) lgkmcnt(0)
	v_xor_b32_e32 v108, s19, v76
	v_cndmask_b32_e64 v47, v58, v57, s16
	v_cmp_lt_u16_e64 s16, v91, v92
	v_cndmask_b32_e64 v56, v60, v59, s16
	v_cmp_lt_u16_e64 s16, v93, v94
	;; [unrolled: 2-line block ×5, first 2 shown]
	v_cndmask_b32_e64 v60, v76, v75, s16
	flat_store_byte v[8:9], v44 glc slc
	flat_store_byte v[8:9], v46 offset:32 glc slc
	flat_store_byte v[8:9], v47 offset:64 glc slc
	;; [unrolled: 1-line block ×7, first 2 shown]
	flat_store_byte v[10:11], v44 glc slc
	flat_store_byte v[10:11], v46 offset:32 glc slc
	flat_store_byte v[10:11], v47 offset:64 glc slc
	;; [unrolled: 1-line block ×7, first 2 shown]
	v_add_co_u32 v8, s16, v8, v99
	v_add_co_ci_u32_e64 v9, null, 0, v9, s16
	v_add_co_u32 v10, s16, v10, v99
	v_add_co_ci_u32_e64 v11, null, 0, v11, s16
	s_andn2_b32 exec_lo, exec_lo, s18
	s_cbranch_execnz .LBB2_584
; %bb.585:                              ;   in Loop: Header=BB2_491 Depth=2
	s_or_b32 exec_lo, exec_lo, s18
.LBB2_586:                              ;   in Loop: Header=BB2_491 Depth=2
	s_or_b32 exec_lo, exec_lo, s17
	v_lshlrev_b32_e32 v8, 8, v43
	v_cmp_ne_u32_e32 vcc_lo, v69, v8
	s_and_b32 exec_lo, exec_lo, vcc_lo
	s_cbranch_execz .LBB2_592
; %bb.587:                              ;   in Loop: Header=BB2_491 Depth=2
	v_lshlrev_b32_e32 v9, 5, v41
	v_lshlrev_b32_e32 v10, 5, v42
	v_sub_nc_u32_e32 v9, v45, v9
	v_sub_nc_u32_e32 v9, v9, v10
	v_add_nc_u32_e32 v8, v8, v9
	v_sub_nc_u32_e32 v69, v69, v8
	v_cmp_lt_i32_e32 vcc_lo, 0, v69
	s_and_b32 exec_lo, exec_lo, vcc_lo
	s_cbranch_execz .LBB2_592
; %bb.588:                              ;   in Loop: Header=BB2_491 Depth=2
	s_trap 2
	ds_read_b128 v[64:67], v0
	v_add_nc_u32_e32 v10, v8, v68
	s_and_b32 s23, s72, 0xff
	s_mov_b32 s73, 0
	v_ashrrev_i32_e32 v11, 31, v10
	s_waitcnt lgkmcnt(0)
	v_add_co_u32 v8, vcc_lo, v64, v10
	v_add_co_ci_u32_e64 v9, null, v65, v11, vcc_lo
	v_add_co_u32 v10, vcc_lo, v66, v10
	v_add_co_ci_u32_e64 v11, null, v67, v11, vcc_lo
	v_mov_b32_e32 v65, v9
	v_mov_b32_e32 v64, v8
	;; [unrolled: 1-line block ×4, first 2 shown]
.LBB2_589:                              ;   Parent Loop BB2_47 Depth=1
                                        ;     Parent Loop BB2_491 Depth=2
                                        ; =>    This Loop Header: Depth=3
                                        ;         Child Loop BB2_590 Depth 4
	flat_load_ubyte v68, v[66:67] slc
	flat_load_ubyte v41, v[64:65] slc
	s_mov_b64 s[18:19], 0
	s_mov_b32 s74, -1
	s_waitcnt vmcnt(1) lgkmcnt(1)
	v_xor_b32_e32 v42, s23, v68
	s_waitcnt vmcnt(0) lgkmcnt(0)
	v_xor_b32_e32 v43, s23, v41
	v_cmp_lt_u16_e32 vcc_lo, v43, v42
	v_cndmask_b32_e32 v68, v68, v41, vcc_lo
	.p2align	6
.LBB2_590:                              ;   Parent Loop BB2_47 Depth=1
                                        ;     Parent Loop BB2_491 Depth=2
                                        ;       Parent Loop BB2_589 Depth=3
                                        ; =>      This Inner Loop Header: Depth=4
	s_cmp_eq_u32 s18, 1
	s_cselect_b32 vcc_lo, -1, 0
	s_cmp_eq_u32 s18, 0
	v_cndmask_b32_e32 v41, v8, v10, vcc_lo
	v_cndmask_b32_e32 v42, v9, v11, vcc_lo
	s_mov_b64 s[18:19], 1
	v_add_co_u32 v43, s16, v41, 32
	v_add_co_ci_u32_e64 v44, null, 0, v42, s16
	s_cselect_b32 s16, -1, 0
	v_cndmask_b32_e32 v10, v10, v43, vcc_lo
	v_cndmask_b32_e64 v8, v8, v43, s16
	v_cndmask_b32_e32 v11, v11, v44, vcc_lo
	v_cndmask_b32_e64 v9, v9, v44, s16
	s_and_b32 s17, exec_lo, s74
	s_mov_b32 s74, 0
	s_mov_b32 vcc_lo, s17
	flat_store_byte v[41:42], v68 glc slc
	s_cbranch_vccnz .LBB2_590
; %bb.591:                              ;   in Loop: Header=BB2_589 Depth=3
	v_add_co_u32 v64, vcc_lo, v64, v112
	v_sub_nc_u32_e32 v69, v69, v84
	v_add_co_ci_u32_e64 v65, null, v65, v113, vcc_lo
	v_add_co_u32 v66, vcc_lo, v66, v112
	v_add_co_ci_u32_e64 v67, null, v67, v113, vcc_lo
	v_add_co_u32 v8, vcc_lo, v8, v100
	v_add_co_ci_u32_e64 v9, null, v9, v102, vcc_lo
	v_cmp_gt_i32_e32 vcc_lo, 1, v69
	v_add_co_u32 v10, s16, v10, v100
	v_add_co_ci_u32_e64 v11, null, v11, v102, s16
	s_or_b32 s73, vcc_lo, s73
	s_andn2_b32 exec_lo, exec_lo, s73
	s_cbranch_execnz .LBB2_589
.LBB2_592:                              ;   in Loop: Header=BB2_491 Depth=2
	s_or_b32 exec_lo, exec_lo, s22
	s_mov_b32 s16, 0
.LBB2_593:                              ;   in Loop: Header=BB2_491 Depth=2
	s_and_b32 vcc_lo, exec_lo, s16
	s_cbranch_vccz .LBB2_620
; %bb.594:                              ;   in Loop: Header=BB2_491 Depth=2
	s_mov_b32 s16, -1
	s_and_saveexec_b32 s17, s14
	s_cbranch_execz .LBB2_596
; %bb.595:                              ;   in Loop: Header=BB2_491 Depth=2
	ds_read_b32 v8, v0 offset:720
	s_waitcnt lgkmcnt(0)
	v_and_b32_e32 v8, 15, v8
	v_cmp_eq_u32_e32 vcc_lo, 0, v8
	s_orn2_b32 s16, vcc_lo, exec_lo
.LBB2_596:                              ;   in Loop: Header=BB2_491 Depth=2
	s_or_b32 exec_lo, exec_lo, s17
	s_and_saveexec_b32 s17, s12
	s_cbranch_execz .LBB2_598
; %bb.597:                              ;   in Loop: Header=BB2_491 Depth=2
	ds_read_b32 v8, v0 offset:784
	s_waitcnt lgkmcnt(0)
	v_and_b32_e32 v8, 15, v8
	v_cmp_eq_u32_e32 vcc_lo, 0, v8
	s_and_b32 s18, s16, vcc_lo
	s_andn2_b32 s16, s16, exec_lo
	s_and_b32 s18, s18, exec_lo
	s_or_b32 s16, s16, s18
.LBB2_598:                              ;   in Loop: Header=BB2_491 Depth=2
	s_or_b32 exec_lo, exec_lo, s17
	s_xor_b32 s16, s16, -1
	v_mov_b32_e32 v64, 0
	v_cndmask_b32_e64 v8, 0, 1, s16
	v_mov_b32_e32 v65, v40
	v_mov_b32_e32 v66, v0
	s_mov_b32 s19, -1
	v_cmp_ne_u32_e32 vcc_lo, 0, v8
	s_cbranch_vccz .LBB2_600
; %bb.599:                              ;   in Loop: Header=BB2_491 Depth=2
	s_and_saveexec_b32 s17, s19
	s_cbranch_execnz .LBB2_611
	s_branch .LBB2_619
.LBB2_600:                              ;   in Loop: Header=BB2_491 Depth=2
	v_ashrrev_i32_e32 v8, 31, v40
	v_sub_nc_u32_e32 v66, v40, v85
	s_mov_b32 s18, exec_lo
	v_lshrrev_b32_e32 v8, 23, v8
	v_add_nc_u32_e32 v8, v40, v8
	v_and_b32_e32 v67, 0xfffffe00, v8
	v_ashrrev_i32_e32 v8, 9, v8
	v_sub_nc_u32_e32 v69, v40, v67
	v_sub_nc_u32_e32 v8, v8, v83
	v_cmp_lt_i32_e32 vcc_lo, 15, v69
	v_add_co_ci_u32_e64 v41, null, 0, v8, vcc_lo
	v_cmpx_lt_i32_e32 15, v66
	s_cbranch_execz .LBB2_604
; %bb.601:                              ;   in Loop: Header=BB2_491 Depth=2
	s_trap 2
	ds_read_b64 v[64:65], v0
	v_add_co_u32 v8, s16, v51, v85
	v_add_co_ci_u32_e64 v9, null, 0, v52, s16
	v_add_co_u32 v10, s16, v53, v85
	v_add_co_ci_u32_e64 v11, null, 0, v54, s16
	s_and_b32 s22, s72, 0xff
	s_mov_b32 s19, 0
	s_mul_i32 s22, s22, 0x1010101
	s_waitcnt lgkmcnt(0)
	v_add_co_u32 v64, s16, v64, v85
	v_add_co_ci_u32_e64 v65, null, 0, v65, s16
.LBB2_602:                              ;   Parent Loop BB2_47 Depth=1
                                        ;     Parent Loop BB2_491 Depth=2
                                        ; =>    This Inner Loop Header: Depth=3
	global_load_dwordx4 v[42:45], v[64:65], off slc
	global_load_dwordx4 v[56:59], v[8:9], off slc
	v_sub_nc_u32_e32 v66, v66, v98
	v_add_co_u32 v8, s16, v8, v98
	v_add_co_ci_u32_e64 v9, null, 0, v9, s16
	v_add_co_u32 v64, s16, v64, v98
	v_add_co_ci_u32_e64 v65, null, 0, v65, s16
	v_cmp_gt_i32_e64 s16, 16, v66
	v_sub_nc_u32_e32 v41, v41, v81
	s_or_b32 s19, s16, s19
	s_waitcnt vmcnt(1)
	v_xor3_b32 v68, s22, -1, v42
	v_xnor_b32_e32 v46, s22, v43
	v_xnor_b32_e32 v47, s22, v44
	;; [unrolled: 1-line block ×3, first 2 shown]
	s_waitcnt vmcnt(0)
	v_xor_b32_e32 v61, s22, v56
	v_xor_b32_e32 v62, s22, v57
	;; [unrolled: 1-line block ×4, first 2 shown]
	v_and_b32_e32 v73, 0xff00ff, v68
	v_lshrrev_b32_e32 v68, 8, v68
	v_and_b32_e32 v74, 0xff00ff, v46
	v_lshrrev_b32_e32 v46, 8, v46
	;; [unrolled: 2-line block ×3, first 2 shown]
	v_and_b32_e32 v76, 0xff00ff, v60
	v_and_b32_e32 v77, 0xff00ff, v61
	v_lshrrev_b32_e32 v61, 8, v61
	v_and_b32_e32 v78, 0xff00ff, v62
	v_lshrrev_b32_e32 v62, 8, v62
	;; [unrolled: 2-line block ×4, first 2 shown]
	v_lshrrev_b32_e32 v72, 8, v72
	v_and_b32_e32 v68, 0xff00ff, v68
	v_and_b32_e32 v46, 0xff00ff, v46
	;; [unrolled: 1-line block ×3, first 2 shown]
	v_add3_u32 v73, v77, v73, 0x1010101
	v_and_b32_e32 v61, 0xff00ff, v61
	v_add3_u32 v74, v78, v74, 0x1010101
	v_and_b32_e32 v62, 0xff00ff, v62
	;; [unrolled: 2-line block ×4, first 2 shown]
	v_and_b32_e32 v72, 0xff00ff, v72
	v_add3_u32 v68, v61, v68, 0x1010101
	v_lshrrev_b32_e32 v61, 8, v73
	v_add3_u32 v46, v62, v46, 0x1010101
	v_lshrrev_b32_e32 v62, 8, v74
	;; [unrolled: 2-line block ×3, first 2 shown]
	v_lshrrev_b32_e32 v73, 8, v76
	v_add3_u32 v60, v72, v60, 0x1010101
	v_and_b32_e32 v61, 0x10001, v61
	v_and_b32_e32 v62, 0x10001, v62
	;; [unrolled: 1-line block ×4, first 2 shown]
	v_and_or_b32 v68, 0x1000100, v68, v61
	v_and_or_b32 v46, 0x1000100, v46, v62
	;; [unrolled: 1-line block ×4, first 2 shown]
	v_mul_lo_u32 v68, 0xff, v68
	v_mul_lo_u32 v46, 0xff, v46
	;; [unrolled: 1-line block ×4, first 2 shown]
	v_bfi_b32 v42, v68, v56, v42
	v_bfi_b32 v43, v46, v57, v43
	;; [unrolled: 1-line block ×4, first 2 shown]
	global_store_dwordx4 v[10:11], v[42:45], off glc slc
	v_add_co_u32 v10, s17, v10, v98
	v_add_co_ci_u32_e64 v11, null, 0, v11, s17
	s_andn2_b32 exec_lo, exec_lo, s19
	s_cbranch_execnz .LBB2_602
; %bb.603:                              ;   in Loop: Header=BB2_491 Depth=2
	s_or_b32 exec_lo, exec_lo, s19
.LBB2_604:                              ;   in Loop: Header=BB2_491 Depth=2
	s_or_b32 exec_lo, exec_lo, s18
	v_and_b32_e32 v8, 15, v40
	v_mov_b32_e32 v64, 0
	s_mov_b32 s19, 0
	s_mov_b32 s18, exec_lo
                                        ; implicit-def: $vgpr65
                                        ; implicit-def: $vgpr66
	v_cndmask_b32_e32 v68, v69, v8, vcc_lo
	v_cmpx_ne_u32_e32 0, v68
	s_cbranch_execz .LBB2_610
; %bb.605:                              ;   in Loop: Header=BB2_491 Depth=2
	v_cmp_lt_i32_e64 s16, 0, v41
	v_ashrrev_i32_e32 v11, 31, v68
	s_mov_b32 s19, exec_lo
	v_cndmask_b32_e64 v9, 0, v81, s16
	v_lshrrev_b32_e32 v11, 23, v11
	v_sub_nc_u32_e32 v9, v9, v41
	v_add_nc_u32_e32 v11, v68, v11
	v_lshl_or_b32 v9, v9, 5, v82
	v_and_b32_e32 v41, 0xfffffe00, v11
	v_ashrrev_i32_e32 v11, 9, v11
	v_ashrrev_i32_e32 v10, 31, v9
	v_lshrrev_b32_e32 v10, 27, v10
	v_add_nc_u32_e32 v10, v9, v10
	v_and_b32_e32 v64, 0xffffffe0, v10
	v_sub_nc_u32_e32 v66, v9, v64
	v_ashrrev_i32_e32 v9, 5, v10
	v_sub_nc_u32_e32 v64, v69, v8
	v_sub_nc_u32_e32 v69, v68, v41
	v_lshlrev_b32_e32 v10, 4, v66
	v_lshl_add_u32 v8, v9, 9, v10
	v_cndmask_b32_e32 v10, 0, v64, vcc_lo
	v_cmp_lt_i32_e32 vcc_lo, 15, v69
	v_sub_nc_u32_e32 v43, v68, v8
	v_add_nc_u32_e32 v67, v10, v67
	v_add_co_ci_u32_e64 v11, null, 0, v11, vcc_lo
	v_sub_nc_u32_e32 v42, v11, v9
	v_cmpx_lt_i32_e32 15, v43
	s_cbranch_execz .LBB2_609
; %bb.606:                              ;   in Loop: Header=BB2_491 Depth=2
	s_trap 2
	ds_read_b64 v[64:65], v0
	v_add_nc_u32_e32 v44, v8, v67
	s_and_b32 s23, s72, 0xff
	s_mov_b32 s22, 0
	s_mul_i32 s23, s23, 0x1010101
	v_ashrrev_i32_e32 v45, 31, v44
	v_add_co_u32 v8, s16, v44, v51
	v_add_co_ci_u32_e64 v9, null, v45, v52, s16
	v_add_co_u32 v10, s16, v44, v53
	v_add_co_ci_u32_e64 v11, null, v45, v54, s16
	s_waitcnt lgkmcnt(0)
	v_add_co_u32 v64, s16, v64, v44
	v_add_co_ci_u32_e64 v65, null, v65, v45, s16
.LBB2_607:                              ;   Parent Loop BB2_47 Depth=1
                                        ;     Parent Loop BB2_491 Depth=2
                                        ; =>    This Inner Loop Header: Depth=3
	global_load_dwordx4 v[44:47], v[64:65], off slc
	global_load_dwordx4 v[56:59], v[8:9], off slc
	v_sub_nc_u32_e32 v43, v43, v98
	v_add_co_u32 v8, s16, v8, v98
	v_add_co_ci_u32_e64 v9, null, 0, v9, s16
	v_add_co_u32 v64, s16, v64, v98
	v_add_co_ci_u32_e64 v65, null, 0, v65, s16
	v_cmp_gt_i32_e64 s16, 16, v43
	v_sub_nc_u32_e32 v42, v42, v81
	s_or_b32 s22, s16, s22
	s_waitcnt vmcnt(1)
	v_xor3_b32 v60, s23, -1, v44
	v_xnor_b32_e32 v61, s23, v45
	v_xnor_b32_e32 v62, s23, v46
	;; [unrolled: 1-line block ×3, first 2 shown]
	s_waitcnt vmcnt(0)
	v_xor_b32_e32 v72, s23, v56
	v_xor_b32_e32 v73, s23, v57
	;; [unrolled: 1-line block ×4, first 2 shown]
	v_and_b32_e32 v76, 0xff00ff, v60
	v_lshrrev_b32_e32 v60, 8, v60
	v_and_b32_e32 v77, 0xff00ff, v61
	v_lshrrev_b32_e32 v61, 8, v61
	;; [unrolled: 2-line block ×3, first 2 shown]
	v_and_b32_e32 v79, 0xff00ff, v63
	v_and_b32_e32 v88, 0xff00ff, v72
	v_lshrrev_b32_e32 v72, 8, v72
	v_and_b32_e32 v89, 0xff00ff, v73
	v_lshrrev_b32_e32 v73, 8, v73
	;; [unrolled: 2-line block ×4, first 2 shown]
	v_lshrrev_b32_e32 v75, 8, v75
	v_and_b32_e32 v60, 0xff00ff, v60
	v_and_b32_e32 v61, 0xff00ff, v61
	;; [unrolled: 1-line block ×3, first 2 shown]
	v_add3_u32 v76, v88, v76, 0x1010101
	v_and_b32_e32 v72, 0xff00ff, v72
	v_add3_u32 v77, v89, v77, 0x1010101
	v_and_b32_e32 v73, 0xff00ff, v73
	;; [unrolled: 2-line block ×4, first 2 shown]
	v_and_b32_e32 v75, 0xff00ff, v75
	v_add3_u32 v60, v72, v60, 0x1010101
	v_lshrrev_b32_e32 v72, 8, v76
	v_add3_u32 v61, v73, v61, 0x1010101
	v_lshrrev_b32_e32 v73, 8, v77
	v_add3_u32 v62, v74, v62, 0x1010101
	v_lshrrev_b32_e32 v74, 8, v78
	v_lshrrev_b32_e32 v76, 8, v79
	v_add3_u32 v63, v75, v63, 0x1010101
	v_and_b32_e32 v72, 0x10001, v72
	v_and_b32_e32 v73, 0x10001, v73
	;; [unrolled: 1-line block ×4, first 2 shown]
	v_and_or_b32 v60, 0x1000100, v60, v72
	v_and_or_b32 v61, 0x1000100, v61, v73
	;; [unrolled: 1-line block ×4, first 2 shown]
	v_mul_lo_u32 v60, 0xff, v60
	v_mul_lo_u32 v61, 0xff, v61
	;; [unrolled: 1-line block ×4, first 2 shown]
	v_bfi_b32 v44, v60, v56, v44
	v_bfi_b32 v45, v61, v57, v45
	;; [unrolled: 1-line block ×4, first 2 shown]
	global_store_dwordx4 v[10:11], v[44:47], off glc slc
	v_add_co_u32 v10, s17, v10, v98
	v_add_co_ci_u32_e64 v11, null, 0, v11, s17
	s_andn2_b32 exec_lo, exec_lo, s22
	s_cbranch_execnz .LBB2_607
; %bb.608:                              ;   in Loop: Header=BB2_491 Depth=2
	s_or_b32 exec_lo, exec_lo, s22
.LBB2_609:                              ;   in Loop: Header=BB2_491 Depth=2
	s_or_b32 exec_lo, exec_lo, s19
	v_and_b32_e32 v8, 15, v68
	v_cmp_lt_i32_e64 s16, 0, v42
	v_sub_nc_u32_e32 v9, v69, v8
	v_cndmask_b32_e64 v10, 0, v81, s16
	v_cndmask_b32_e32 v65, v69, v8, vcc_lo
	v_cndmask_b32_e32 v8, 0, v9, vcc_lo
	v_sub_nc_u32_e32 v9, v10, v42
	v_cmp_ne_u32_e32 vcc_lo, 0, v65
	v_add3_u32 v64, v41, v67, v8
	v_lshl_add_u32 v66, v9, 5, v66
	s_and_b32 s19, vcc_lo, exec_lo
.LBB2_610:                              ;   in Loop: Header=BB2_491 Depth=2
	s_or_b32 exec_lo, exec_lo, s18
	s_and_saveexec_b32 s17, s19
	s_cbranch_execz .LBB2_619
.LBB2_611:                              ;   in Loop: Header=BB2_491 Depth=2
	v_ashrrev_i32_e32 v8, 31, v66
	v_ashrrev_i32_e32 v9, 31, v65
	s_mov_b32 s18, exec_lo
	v_lshrrev_b32_e32 v8, 27, v8
	v_add_nc_u32_sdwa v9, v65, v9 dst_sel:DWORD dst_unused:UNUSED_PAD src0_sel:DWORD src1_sel:BYTE_3
	v_add_nc_u32_e32 v8, v66, v8
	v_ashrrev_i32_e32 v69, 8, v9
	v_ashrrev_i32_e32 v67, 5, v8
	v_sub_nc_u32_e32 v68, v69, v67
	v_cmpx_lt_i32_e32 0, v68
	s_cbranch_execz .LBB2_615
; %bb.612:                              ;   in Loop: Header=BB2_491 Depth=2
	v_and_b32_e32 v8, 0xffffffe0, v8
	s_trap 2
	ds_read_b64 v[10:11], v0
	v_lshlrev_b32_e32 v9, 8, v67
	v_add_co_u32 v53, vcc_lo, 0xe0, v53
	v_sub_nc_u32_e32 v8, v66, v8
	v_add_co_ci_u32_e64 v54, null, 0, v54, vcc_lo
	s_and_b32 s19, s72, 0xff
	s_mov_b32 s22, 0
	v_add3_u32 v41, v64, v8, v9
	v_ashrrev_i32_e32 v42, 31, v41
	v_add_co_u32 v8, vcc_lo, v41, v51
	v_add_co_ci_u32_e64 v9, null, v42, v52, vcc_lo
	s_waitcnt lgkmcnt(0)
	v_add_co_u32 v10, vcc_lo, v10, v41
	v_add_co_ci_u32_e64 v11, null, v11, v42, vcc_lo
	v_add_co_u32 v51, vcc_lo, v53, v41
	v_add_co_ci_u32_e64 v52, null, v54, v42, vcc_lo
.LBB2_613:                              ;   Parent Loop BB2_47 Depth=1
                                        ;     Parent Loop BB2_491 Depth=2
                                        ; =>    This Inner Loop Header: Depth=3
	flat_load_ubyte v47, v[8:9] slc
	flat_load_ubyte v62, v[10:11] slc
	flat_load_ubyte v63, v[8:9] offset:32 slc
	flat_load_ubyte v72, v[10:11] offset:32 slc
	;; [unrolled: 1-line block ×14, first 2 shown]
	v_add_co_u32 v53, vcc_lo, 0xffffff20, v51
	v_add_co_ci_u32_e64 v54, null, -1, v52, vcc_lo
	v_add_co_u32 v41, vcc_lo, 0xffffff40, v51
	v_add_co_ci_u32_e64 v42, null, -1, v52, vcc_lo
	;; [unrolled: 2-line block ×6, first 2 shown]
	v_add_co_u32 v60, vcc_lo, 0xffffffe0, v51
	v_sub_nc_u32_e32 v68, v68, v81
	v_add_co_ci_u32_e64 v61, null, -1, v52, vcc_lo
	v_add_co_u32 v8, vcc_lo, v8, v99
	v_add_co_ci_u32_e64 v9, null, 0, v9, vcc_lo
	v_add_co_u32 v10, vcc_lo, v10, v99
	v_add_co_ci_u32_e64 v11, null, 0, v11, vcc_lo
	v_cmp_gt_i32_e32 vcc_lo, 1, v68
	s_or_b32 s22, vcc_lo, s22
	s_waitcnt vmcnt(15) lgkmcnt(15)
	v_xor_b32_e32 v93, s19, v47
	s_waitcnt vmcnt(14) lgkmcnt(14)
	v_xor_b32_e32 v94, s19, v62
	s_waitcnt vmcnt(13) lgkmcnt(13)
	v_xor_b32_e32 v95, s19, v63
	s_waitcnt vmcnt(12) lgkmcnt(12)
	v_xor_b32_e32 v104, s19, v72
	s_waitcnt vmcnt(11) lgkmcnt(11)
	v_xor_b32_e32 v105, s19, v73
	s_waitcnt vmcnt(10) lgkmcnt(10)
	v_xor_b32_e32 v106, s19, v74
	v_cmp_lt_u16_e64 s16, v93, v94
	s_waitcnt vmcnt(9) lgkmcnt(9)
	v_xor_b32_e32 v107, s19, v75
	s_waitcnt vmcnt(8) lgkmcnt(8)
	v_xor_b32_e32 v108, s19, v76
	;; [unrolled: 2-line block ×4, first 2 shown]
	v_cndmask_b32_e64 v47, v62, v47, s16
	v_cmp_lt_u16_e64 s16, v95, v104
	s_waitcnt vmcnt(5) lgkmcnt(5)
	v_xor_b32_e32 v111, s19, v79
	s_waitcnt vmcnt(4) lgkmcnt(4)
	v_xor_b32_e32 v120, s19, v88
	;; [unrolled: 2-line block ×4, first 2 shown]
	v_cndmask_b32_e64 v62, v72, v63, s16
	v_cmp_lt_u16_e64 s16, v105, v106
	s_waitcnt vmcnt(1) lgkmcnt(1)
	v_xor_b32_e32 v123, s19, v91
	s_waitcnt vmcnt(0) lgkmcnt(0)
	v_xor_b32_e32 v124, s19, v92
	v_cndmask_b32_e64 v63, v74, v73, s16
	v_cmp_lt_u16_e64 s16, v107, v108
	v_cndmask_b32_e64 v72, v76, v75, s16
	v_cmp_lt_u16_e64 s16, v109, v110
	;; [unrolled: 2-line block ×5, first 2 shown]
	v_cndmask_b32_e64 v76, v92, v91, s16
	flat_store_byte v[53:54], v47 glc slc
	flat_store_byte v[41:42], v62 glc slc
	;; [unrolled: 1-line block ×8, first 2 shown]
	v_add_co_u32 v51, s16, v51, v99
	v_add_co_ci_u32_e64 v52, null, 0, v52, s16
	s_andn2_b32 exec_lo, exec_lo, s22
	s_cbranch_execnz .LBB2_613
; %bb.614:                              ;   in Loop: Header=BB2_491 Depth=2
	s_or_b32 exec_lo, exec_lo, s22
.LBB2_615:                              ;   in Loop: Header=BB2_491 Depth=2
	s_or_b32 exec_lo, exec_lo, s18
	v_lshlrev_b32_e32 v8, 8, v69
	v_cmp_ne_u32_e32 vcc_lo, v65, v8
	s_and_b32 exec_lo, exec_lo, vcc_lo
	s_cbranch_execz .LBB2_619
; %bb.616:                              ;   in Loop: Header=BB2_491 Depth=2
	v_lshlrev_b32_e32 v9, 5, v67
	v_lshlrev_b32_e32 v10, 5, v68
	v_sub_nc_u32_e32 v9, v66, v9
	v_sub_nc_u32_e32 v9, v9, v10
	v_add_nc_u32_e32 v8, v8, v9
	v_sub_nc_u32_e32 v53, v65, v8
	v_cmp_lt_i32_e32 vcc_lo, 0, v53
	s_and_b32 exec_lo, exec_lo, vcc_lo
	s_cbranch_execz .LBB2_619
; %bb.617:                              ;   in Loop: Header=BB2_491 Depth=2
	s_trap 2
	ds_read_b128 v[65:68], v0
	ds_read_b64 v[51:52], v0
	v_add_nc_u32_e32 v54, v8, v64
	s_and_b32 s18, s72, 0xff
	s_mov_b32 s19, 0
	v_ashrrev_i32_e32 v64, 31, v54
	s_waitcnt lgkmcnt(1)
	v_add_co_u32 v8, vcc_lo, v65, v54
	v_add_co_ci_u32_e64 v9, null, v66, v64, vcc_lo
	v_add_co_u32 v10, vcc_lo, v67, v54
	v_add_co_ci_u32_e64 v11, null, v68, v64, vcc_lo
	s_waitcnt lgkmcnt(0)
	v_add_co_u32 v51, vcc_lo, v51, v54
	v_add_co_ci_u32_e64 v52, null, v52, v64, vcc_lo
	.p2align	6
.LBB2_618:                              ;   Parent Loop BB2_47 Depth=1
                                        ;     Parent Loop BB2_491 Depth=2
                                        ; =>    This Inner Loop Header: Depth=3
	flat_load_ubyte v54, v[10:11] slc
	flat_load_ubyte v64, v[8:9] slc
	v_sub_nc_u32_e32 v53, v53, v84
	v_add_co_u32 v8, vcc_lo, v8, v84
	v_add_co_ci_u32_e64 v9, null, 0, v9, vcc_lo
	v_add_co_u32 v10, vcc_lo, v10, v84
	v_add_co_ci_u32_e64 v11, null, 0, v11, vcc_lo
	v_cmp_gt_i32_e32 vcc_lo, 1, v53
	s_or_b32 s19, vcc_lo, s19
	s_waitcnt vmcnt(1) lgkmcnt(1)
	v_xor_b32_e32 v65, s18, v54
	s_waitcnt vmcnt(0) lgkmcnt(0)
	v_xor_b32_e32 v66, s18, v64
	v_cmp_lt_u16_e64 s16, v66, v65
	v_cndmask_b32_e64 v54, v54, v64, s16
	flat_store_byte v[51:52], v54 glc slc
	v_add_co_u32 v51, s16, v51, v84
	v_add_co_ci_u32_e64 v52, null, 0, v52, s16
	s_andn2_b32 exec_lo, exec_lo, s19
	s_cbranch_execnz .LBB2_618
.LBB2_619:                              ;   in Loop: Header=BB2_491 Depth=2
	s_or_b32 exec_lo, exec_lo, s17
.LBB2_620:                              ;   in Loop: Header=BB2_491 Depth=2
	v_cmp_lt_i32_e64 s16, 0, v40
	s_and_saveexec_b32 s17, s6
	s_cbranch_execz .LBB2_639
.LBB2_621:                              ;   in Loop: Header=BB2_491 Depth=2
	s_and_saveexec_b32 s18, s29
	s_xor_b32 s18, exec_lo, s18
	s_cbranch_execz .LBB2_636
; %bb.622:                              ;   in Loop: Header=BB2_491 Depth=2
	s_and_saveexec_b32 s19, s11
	s_cbranch_execz .LBB2_635
; %bb.623:                              ;   in Loop: Header=BB2_491 Depth=2
	s_mov_b32 s23, exec_lo
	s_mov_b32 s22, exec_lo
	v_mbcnt_lo_u32_b32 v8, s23, 0
	s_waitcnt vmcnt(0) lgkmcnt(0)
	s_waitcnt_vscnt null, 0x0
	buffer_gl1_inv
	buffer_gl0_inv
	v_cmpx_eq_u32_e32 0, v8
	s_cbranch_execz .LBB2_625
; %bb.624:                              ;   in Loop: Header=BB2_491 Depth=2
	s_bcnt1_i32_b32 s23, s23
	v_mov_b32_e32 v9, v2
	v_mov_b32_e32 v8, s23
	ds_add_u64 v0, v[8:9]
	s_trap 2
.LBB2_625:                              ;   in Loop: Header=BB2_491 Depth=2
	s_or_b32 exec_lo, exec_lo, s22
	s_trap 2
	ds_read_b64 v[8:9], v0
	s_waitcnt lgkmcnt(0)
	buffer_gl0_inv
	v_add_co_u32 v12, vcc_lo, v12, v81
	v_add_co_ci_u32_e64 v13, null, 0, v13, vcc_lo
	s_mov_b32 s22, exec_lo
	v_cmpx_lt_u64_e64 v[8:9], v[12:13]
	s_cbranch_execz .LBB2_634
; %bb.626:                              ;   in Loop: Header=BB2_491 Depth=2
	s_mov_b32 s23, 0
	s_mov_b32 s74, 0
                                        ; implicit-def: $sgpr72
                                        ; implicit-def: $sgpr73
	s_inst_prefetch 0x1
	s_branch .LBB2_628
	.p2align	6
.LBB2_627:                              ;   in Loop: Header=BB2_628 Depth=3
	s_or_b32 exec_lo, exec_lo, s76
	s_and_b32 s75, exec_lo, s77
	s_or_b32 s23, s75, s23
	s_andn2_b32 s72, s72, exec_lo
	s_and_b32 s75, s73, exec_lo
	s_or_b32 s72, s72, s75
	s_andn2_b32 exec_lo, exec_lo, s23
	s_cbranch_execz .LBB2_632
.LBB2_628:                              ;   Parent Loop BB2_47 Depth=1
                                        ;     Parent Loop BB2_491 Depth=2
                                        ; =>    This Inner Loop Header: Depth=3
	s_add_i32 s74, s74, 1
	s_cmpk_lg_i32 s74, 0x2710
	s_cselect_b32 s75, -1, 0
	s_and_b32 vcc_lo, exec_lo, s75
	s_cbranch_vccz .LBB2_630
; %bb.629:                              ;   in Loop: Header=BB2_628 Depth=3
	s_mov_b32 s77, -1
	s_or_b32 s73, s73, exec_lo
	s_and_saveexec_b32 s76, s75
	s_cbranch_execz .LBB2_627
	s_branch .LBB2_631
	.p2align	6
.LBB2_630:                              ;   in Loop: Header=BB2_628 Depth=3
	s_trap 2
	ds_read_b64 v[8:9], v0
	s_andn2_b32 s75, s75, exec_lo
	s_mov_b32 s74, 0
	s_waitcnt lgkmcnt(0)
	flat_load_dword v8, v[8:9] glc dlc
	s_waitcnt vmcnt(0) lgkmcnt(0)
	buffer_gl1_inv
	buffer_gl0_inv
	v_cmp_eq_u32_e32 vcc_lo, 0, v8
	s_and_b32 s76, vcc_lo, exec_lo
	s_or_b32 s75, s75, s76
	s_mov_b32 s77, -1
	s_or_b32 s73, s73, exec_lo
	s_and_saveexec_b32 s76, s75
	s_cbranch_execz .LBB2_627
.LBB2_631:                              ;   in Loop: Header=BB2_628 Depth=3
	s_sleep 1
	s_trap 2
	ds_read_b64 v[8:9], v0
	s_waitcnt lgkmcnt(0)
	buffer_gl0_inv
	s_andn2_b32 s73, s73, exec_lo
	v_cmp_ge_u64_e32 vcc_lo, v[8:9], v[12:13]
	s_orn2_b32 s77, vcc_lo, exec_lo
	s_branch .LBB2_627
.LBB2_632:                              ;   in Loop: Header=BB2_491 Depth=2
	s_inst_prefetch 0x2
	s_or_b32 exec_lo, exec_lo, s23
	s_and_saveexec_b32 s23, s72
	s_xor_b32 s23, exec_lo, s23
	s_cbranch_execz .LBB2_634
; %bb.633:                              ;   in Loop: Header=BB2_491 Depth=2
	ds_write_b32 v0, v86
	s_trap 2
.LBB2_634:                              ;   in Loop: Header=BB2_491 Depth=2
	s_or_b32 exec_lo, exec_lo, s22
	;;#ASMSTART
	s_wakeup
	;;#ASMEND
.LBB2_635:                              ;   in Loop: Header=BB2_491 Depth=2
	s_or_b32 exec_lo, exec_lo, s19
.LBB2_636:                              ;   in Loop: Header=BB2_491 Depth=2
	s_andn2_saveexec_b32 s18, s18
	s_cbranch_execz .LBB2_638
; %bb.637:                              ;   in Loop: Header=BB2_491 Depth=2
	s_waitcnt vmcnt(0) lgkmcnt(0)
	s_waitcnt_vscnt null, 0x0
	buffer_gl1_inv
	buffer_gl0_inv
	s_barrier
.LBB2_638:                              ;   in Loop: Header=BB2_491 Depth=2
	s_or_b32 exec_lo, exec_lo, s18
.LBB2_639:                              ;   in Loop: Header=BB2_491 Depth=2
	s_or_b32 exec_lo, exec_lo, s17
	v_and_b32_e32 v8, 16, v71
	s_and_saveexec_b32 s17, s15
	s_xor_b32 s17, exec_lo, s17
	s_cbranch_execz .LBB2_643
; %bb.640:                              ;   in Loop: Header=BB2_491 Depth=2
	v_and_b32_e32 v8, 16, v71
	v_cmp_ne_u32_e32 vcc_lo, 0, v8
	v_and_b32_e32 v8, 16, v71
	s_and_b32 s18, vcc_lo, s16
	s_and_saveexec_b32 s16, s18
	s_cbranch_execz .LBB2_642
; %bb.641:                              ;   in Loop: Header=BB2_491 Depth=2
	v_mov_b32_e32 v8, 1
	s_waitcnt vmcnt(0) lgkmcnt(0)
	s_waitcnt_vscnt null, 0x0
	buffer_gl1_inv
	buffer_gl0_inv
.LBB2_642:                              ;   in Loop: Header=BB2_491 Depth=2
	s_or_b32 exec_lo, exec_lo, s16
.LBB2_643:                              ;   in Loop: Header=BB2_491 Depth=2
	s_andn2_saveexec_b32 s16, s17
	s_cbranch_execz .LBB2_662
; %bb.644:                              ;   in Loop: Header=BB2_491 Depth=2
	s_and_saveexec_b32 s17, s29
	s_xor_b32 s17, exec_lo, s17
	s_cbranch_execz .LBB2_659
; %bb.645:                              ;   in Loop: Header=BB2_491 Depth=2
	s_and_saveexec_b32 s18, s11
	s_cbranch_execz .LBB2_658
; %bb.646:                              ;   in Loop: Header=BB2_491 Depth=2
	s_mov_b32 s22, exec_lo
	s_mov_b32 s19, exec_lo
	v_mbcnt_lo_u32_b32 v9, s22, 0
	;;#ASMSTART
	s_waitcnt lgkmcnt(0) vmcnt(0)
	;;#ASMEND
	v_cmpx_eq_u32_e32 0, v9
	s_cbranch_execz .LBB2_648
; %bb.647:                              ;   in Loop: Header=BB2_491 Depth=2
	s_bcnt1_i32_b32 s22, s22
	v_mov_b32_e32 v10, v2
	v_mov_b32_e32 v9, s22
	s_waitcnt vmcnt(0) lgkmcnt(0)
	s_waitcnt_vscnt null, 0x0
	ds_add_u64 v0, v[9:10]
	s_trap 2
.LBB2_648:                              ;   in Loop: Header=BB2_491 Depth=2
	s_or_b32 exec_lo, exec_lo, s19
	s_trap 2
	ds_read_b64 v[9:10], v0
	s_waitcnt vmcnt(0) lgkmcnt(0)
	buffer_gl0_inv
	v_add_co_u32 v12, vcc_lo, v12, v81
	v_add_co_ci_u32_e64 v13, null, 0, v13, vcc_lo
	s_mov_b32 s19, exec_lo
	v_cmpx_lt_u64_e64 v[9:10], v[12:13]
	s_cbranch_execz .LBB2_657
; %bb.649:                              ;   in Loop: Header=BB2_491 Depth=2
	s_mov_b32 s22, 0
	s_mov_b32 s73, 0
                                        ; implicit-def: $sgpr23
                                        ; implicit-def: $sgpr72
	s_inst_prefetch 0x1
	s_branch .LBB2_651
	.p2align	6
.LBB2_650:                              ;   in Loop: Header=BB2_651 Depth=3
	s_or_b32 exec_lo, exec_lo, s75
	s_and_b32 s74, exec_lo, s76
	s_or_b32 s22, s74, s22
	s_andn2_b32 s23, s23, exec_lo
	s_and_b32 s74, s72, exec_lo
	s_or_b32 s23, s23, s74
	s_andn2_b32 exec_lo, exec_lo, s22
	s_cbranch_execz .LBB2_655
.LBB2_651:                              ;   Parent Loop BB2_47 Depth=1
                                        ;     Parent Loop BB2_491 Depth=2
                                        ; =>    This Inner Loop Header: Depth=3
	s_add_i32 s73, s73, 1
	s_cmpk_lg_i32 s73, 0x2710
	s_cselect_b32 s74, -1, 0
	s_and_b32 vcc_lo, exec_lo, s74
	s_cbranch_vccz .LBB2_653
; %bb.652:                              ;   in Loop: Header=BB2_651 Depth=3
	s_mov_b32 s76, -1
	s_or_b32 s72, s72, exec_lo
	s_and_saveexec_b32 s75, s74
	s_cbranch_execz .LBB2_650
	s_branch .LBB2_654
	.p2align	6
.LBB2_653:                              ;   in Loop: Header=BB2_651 Depth=3
	s_trap 2
	ds_read_b64 v[9:10], v0
	s_andn2_b32 s74, s74, exec_lo
	s_mov_b32 s73, 0
	s_waitcnt lgkmcnt(0)
	s_waitcnt_vscnt null, 0x0
	flat_load_dword v9, v[9:10] glc dlc
	s_waitcnt vmcnt(0) lgkmcnt(0)
	buffer_gl1_inv
	buffer_gl0_inv
	v_cmp_eq_u32_e32 vcc_lo, 0, v9
	s_and_b32 s75, vcc_lo, exec_lo
	s_or_b32 s74, s74, s75
	s_mov_b32 s76, -1
	s_or_b32 s72, s72, exec_lo
	s_and_saveexec_b32 s75, s74
	s_cbranch_execz .LBB2_650
.LBB2_654:                              ;   in Loop: Header=BB2_651 Depth=3
	s_sleep 1
	s_trap 2
	ds_read_b64 v[9:10], v0
	s_waitcnt lgkmcnt(0)
	buffer_gl0_inv
	s_andn2_b32 s72, s72, exec_lo
	v_cmp_ge_u64_e32 vcc_lo, v[9:10], v[12:13]
	s_orn2_b32 s76, vcc_lo, exec_lo
	s_branch .LBB2_650
.LBB2_655:                              ;   in Loop: Header=BB2_491 Depth=2
	s_inst_prefetch 0x2
	s_or_b32 exec_lo, exec_lo, s22
	s_and_saveexec_b32 s22, s23
	s_xor_b32 s22, exec_lo, s22
	s_cbranch_execz .LBB2_657
; %bb.656:                              ;   in Loop: Header=BB2_491 Depth=2
	ds_write_b32 v0, v86
	s_trap 2
.LBB2_657:                              ;   in Loop: Header=BB2_491 Depth=2
	s_or_b32 exec_lo, exec_lo, s19
	;;#ASMSTART
	s_wakeup
	;;#ASMEND
.LBB2_658:                              ;   in Loop: Header=BB2_491 Depth=2
	s_or_b32 exec_lo, exec_lo, s18
.LBB2_659:                              ;   in Loop: Header=BB2_491 Depth=2
	s_andn2_saveexec_b32 s17, s17
	s_cbranch_execz .LBB2_661
; %bb.660:                              ;   in Loop: Header=BB2_491 Depth=2
	;;#ASMSTART
	s_waitcnt lgkmcnt(0) vmcnt(0)
	;;#ASMEND
	s_barrier
.LBB2_661:                              ;   in Loop: Header=BB2_491 Depth=2
	s_or_b32 exec_lo, exec_lo, s17
.LBB2_662:                              ;   in Loop: Header=BB2_491 Depth=2
	s_or_b32 exec_lo, exec_lo, s16
	v_cmp_ne_u32_e32 vcc_lo, 0, v8
	s_xor_b32 s16, s7, -1
	s_and_b32 s17, vcc_lo, s16
	s_and_saveexec_b32 s16, s17
	s_cbranch_execz .LBB2_664
; %bb.663:                              ;   in Loop: Header=BB2_491 Depth=2
	s_waitcnt vmcnt(0) lgkmcnt(0)
	s_waitcnt_vscnt null, 0x0
	flat_store_dword v[24:25], v86
.LBB2_664:                              ;   in Loop: Header=BB2_491 Depth=2
	s_or_b32 exec_lo, exec_lo, s16
	v_and_b32_e32 v8, 48, v71
	s_mov_b32 s16, exec_lo
	v_cmpx_ne_u32_e32 0, v8
	s_cbranch_execz .LBB2_490
; %bb.665:                              ;   in Loop: Header=BB2_491 Depth=2
	v_add_co_u32 v38, vcc_lo, v38, 2
	v_add_co_ci_u32_e64 v39, null, 0, v39, vcc_lo
	s_waitcnt vmcnt(0) lgkmcnt(0)
	s_waitcnt_vscnt null, 0x0
	flat_store_dwordx2 v[20:21], v[38:39]
	s_branch .LBB2_490
.LBB2_666:                              ;   in Loop: Header=BB2_47 Depth=1
	s_or_b32 exec_lo, exec_lo, s61
.LBB2_667:                              ;   in Loop: Header=BB2_47 Depth=1
	s_or_b32 exec_lo, exec_lo, s21
	s_mov_b32 s17, exec_lo
	v_cmpx_gt_i32_e32 2, v10
	s_cbranch_execz .LBB2_743
; %bb.668:                              ;   in Loop: Header=BB2_47 Depth=1
	v_cmp_eq_u32_e64 s19, 0, v10
	s_mov_b32 s18, 0
	s_branch .LBB2_670
.LBB2_669:                              ;   in Loop: Header=BB2_670 Depth=2
	s_or_b32 exec_lo, exec_lo, s16
	v_add_nc_u32_e32 v55, v50, v55
	s_mov_b32 s19, 0
	s_andn2_b32 exec_lo, exec_lo, s18
	s_cbranch_execz .LBB2_742
.LBB2_670:                              ;   Parent Loop BB2_47 Depth=1
                                        ; =>  This Loop Header: Depth=2
                                        ;       Child Loop BB2_676 Depth 3
                                        ;       Child Loop BB2_704 Depth 3
	;; [unrolled: 1-line block ×3, first 2 shown]
	v_sub_nc_u32_e32 v8, v3, v55
	v_and_b32_e32 v9, 12, v71
	s_mov_b32 s21, exec_lo
	v_min_i32_e32 v50, v50, v8
	v_cmpx_ne_u32_e32 0, v9
	s_cbranch_execz .LBB2_696
; %bb.671:                              ;   in Loop: Header=BB2_670 Depth=2
	v_and_b32_e32 v53, 8, v71
	s_mov_b32 s22, exec_lo
	s_waitcnt vmcnt(0) lgkmcnt(1)
	v_add_co_u32 v10, vcc_lo, v26, v53
	v_add_co_ci_u32_e64 v11, null, 0, v27, vcc_lo
	v_add_co_u32 v8, vcc_lo, v38, 2
	v_add_co_ci_u32_e64 v9, null, 0, v39, vcc_lo
	v_cmpx_lt_u64_e64 v[10:11], v[8:9]
	s_cbranch_execz .LBB2_683
; %bb.672:                              ;   in Loop: Header=BB2_670 Depth=2
	v_and_b32_e32 v10, 64, v71
	s_mov_b32 s23, 0
	s_mov_b32 s72, 0
                                        ; implicit-def: $sgpr61
                                        ; implicit-def: $sgpr62
                                        ; implicit-def: $sgpr63
	v_cmp_eq_u32_e32 vcc_lo, 0, v10
	s_branch .LBB2_676
.LBB2_673:                              ;   in Loop: Header=BB2_676 Depth=3
	s_waitcnt vmcnt(0) lgkmcnt(0)
	v_add_co_u32 v51, s16, v26, v53
	v_add_co_ci_u32_e64 v52, null, 0, v27, s16
	s_or_b32 s75, s75, exec_lo
	v_cmp_ge_u64_e64 s16, v[51:52], v[8:9]
	s_orn2_b32 s74, s16, exec_lo
.LBB2_674:                              ;   in Loop: Header=BB2_676 Depth=3
	s_or_b32 exec_lo, exec_lo, s77
	s_andn2_b32 s16, s63, exec_lo
	s_and_b32 s63, s75, exec_lo
	s_andn2_b32 s62, s62, exec_lo
	s_and_b32 s74, s74, exec_lo
	s_or_b32 s63, s16, s63
	s_or_b32 s62, s62, s74
.LBB2_675:                              ;   in Loop: Header=BB2_676 Depth=3
	s_or_b32 exec_lo, exec_lo, s73
	s_and_b32 s16, exec_lo, s62
	s_or_b32 s23, s16, s23
	s_andn2_b32 s16, s61, exec_lo
	s_and_b32 s61, s63, exec_lo
	s_or_b32 s61, s16, s61
	s_andn2_b32 exec_lo, exec_lo, s23
	s_cbranch_execz .LBB2_680
.LBB2_676:                              ;   Parent Loop BB2_47 Depth=1
                                        ;     Parent Loop BB2_670 Depth=2
                                        ; =>    This Inner Loop Header: Depth=3
	s_sleep 1
	s_waitcnt vmcnt(0) lgkmcnt(0)
	flat_load_dwordx2 v[26:27], v[20:21] glc dlc
	s_or_b32 s63, s63, exec_lo
	s_or_b32 s62, s62, exec_lo
                                        ; implicit-def: $vgpr10
	s_and_saveexec_b32 s73, vcc_lo
	s_cbranch_execz .LBB2_675
; %bb.677:                              ;   in Loop: Header=BB2_676 Depth=3
	s_cmpk_lt_i32 s72, 0x270f
	s_mov_b32 s74, -1
	s_cselect_b32 s76, -1, 0
	s_cmpk_gt_i32 s72, 0x270e
	s_cbranch_scc0 .LBB2_679
; %bb.678:                              ;   in Loop: Header=BB2_676 Depth=3
	s_trap 2
	ds_read_b64 v[10:11], v0
	s_andn2_b32 s72, s76, exec_lo
	s_mov_b32 s75, 0
	s_waitcnt vmcnt(0) lgkmcnt(0)
	s_waitcnt_vscnt null, 0x0
	flat_load_dword v10, v[10:11] glc dlc
	s_waitcnt vmcnt(0) lgkmcnt(0)
	buffer_gl1_inv
	buffer_gl0_inv
	v_cmp_eq_u32_e64 s16, 0, v10
	s_and_b32 s16, s16, exec_lo
	s_or_b32 s76, s72, s16
	s_mov_b32 s72, 0
	s_and_saveexec_b32 s77, s76
	s_cbranch_execz .LBB2_674
	s_branch .LBB2_673
.LBB2_679:                              ;   in Loop: Header=BB2_676 Depth=3
	s_add_i32 s72, s72, 1
	s_mov_b32 s75, -1
                                        ; implicit-def: $vgpr10
	s_and_saveexec_b32 s77, s76
	s_cbranch_execz .LBB2_674
	s_branch .LBB2_673
.LBB2_680:                              ;   in Loop: Header=BB2_670 Depth=2
	s_or_b32 exec_lo, exec_lo, s23
	s_xor_b32 s16, s61, -1
	s_and_saveexec_b32 s23, s16
	s_xor_b32 s16, exec_lo, s23
	s_cbranch_execz .LBB2_682
; %bb.681:                              ;   in Loop: Header=BB2_670 Depth=2
	v_or_b32_e32 v71, 64, v71
	s_waitcnt vmcnt(0) lgkmcnt(0)
	s_waitcnt_vscnt null, 0x0
	ds_write_b32 v0, v10
	s_trap 2
.LBB2_682:                              ;   in Loop: Header=BB2_670 Depth=2
	s_or_b32 exec_lo, exec_lo, s16
.LBB2_683:                              ;   in Loop: Header=BB2_670 Depth=2
	s_or_b32 exec_lo, exec_lo, s22
	v_and_b32_e32 v10, 0x108, v71
	;;#ASMSTART
	s_wakeup
	;;#ASMEND
	v_cmp_ne_u32_e32 vcc_lo, 0x108, v10
                                        ; implicit-def: $vgpr10_vgpr11
	s_and_saveexec_b32 s16, vcc_lo
	s_xor_b32 s16, exec_lo, s16
; %bb.684:                              ;   in Loop: Header=BB2_670 Depth=2
	v_and_b32_e32 v10, 7, v38
	v_mov_b32_e32 v11, v2
                                        ; implicit-def: $vgpr38_vgpr39
; %bb.685:                              ;   in Loop: Header=BB2_670 Depth=2
	s_andn2_saveexec_b32 s16, s16
	s_cbranch_execz .LBB2_687
; %bb.686:                              ;   in Loop: Header=BB2_670 Depth=2
	v_and_b32_e32 v10, 7, v38
	v_ashrrev_i32_e32 v51, 31, v50
	v_mov_b32_e32 v11, v2
	v_mad_u64_u32 v[38:39], null, v10, 24, v[6:7]
	flat_store_dwordx2 v[38:39], v[50:51] offset:8
.LBB2_687:                              ;   in Loop: Header=BB2_670 Depth=2
	s_or_b32 exec_lo, exec_lo, s16
	v_and_b32_e32 v38, 0x100, v71
	s_mov_b32 s16, -1
	v_cmp_ne_u32_e32 vcc_lo, 0, v38
                                        ; implicit-def: $vgpr38_vgpr39
	s_and_saveexec_b32 s22, vcc_lo
	s_cbranch_execz .LBB2_691
; %bb.688:                              ;   in Loop: Header=BB2_670 Depth=2
	v_mad_u64_u32 v[51:52], null, v10, 24, v[6:7]
	v_mov_b32_e32 v38, v52
	v_mad_u64_u32 v[38:39], null, v11, 24, v[38:39]
	v_mov_b32_e32 v52, v38
	flat_load_dword v38, v[51:52]
	s_waitcnt vmcnt(0) lgkmcnt(0)
	v_cmp_eq_u32_e64 s16, 1, v38
	v_cmp_ne_u32_e32 vcc_lo, 1, v38
                                        ; implicit-def: $vgpr38_vgpr39
	s_and_saveexec_b32 s23, s16
	s_cbranch_execz .LBB2_690
; %bb.689:                              ;   in Loop: Header=BB2_670 Depth=2
	flat_load_dword v38, v[51:52] offset:4 glc dlc
	s_waitcnt vmcnt(0) lgkmcnt(0)
	v_ashrrev_i32_e32 v39, 31, v38
.LBB2_690:                              ;   in Loop: Header=BB2_670 Depth=2
	s_or_b32 exec_lo, exec_lo, s23
	s_orn2_b32 s16, vcc_lo, exec_lo
.LBB2_691:                              ;   in Loop: Header=BB2_670 Depth=2
	s_or_b32 exec_lo, exec_lo, s22
	s_and_saveexec_b32 s22, s16
; %bb.692:                              ;   in Loop: Header=BB2_670 Depth=2
	v_mul_lo_u32 v11, v11, v80
	v_mul_lo_u32 v51, v10, v30
	v_mad_u64_u32 v[38:39], null, v10, v80, 0
	v_add3_u32 v39, v39, v51, v11
; %bb.693:                              ;   in Loop: Header=BB2_670 Depth=2
	s_or_b32 exec_lo, exec_lo, s22
	v_cmp_eq_u32_e32 vcc_lo, 0, v53
	v_and_b32_e32 v52, 0x2000, v71
	s_mov_b32 s16, exec_lo
	v_cndmask_b32_e32 v51, 0xd0, v87, vcc_lo
	v_add_co_u32 v10, vcc_lo, v22, v38
	v_add_co_ci_u32_e64 v11, null, v23, v39, vcc_lo
	v_add_nc_u32_e32 v38, v0, v51
	ds_write_b64 v38, v[10:11] offset:584
	v_cmpx_ne_u32_e32 0, v52
	s_cbranch_execz .LBB2_695
; %bb.694:                              ;   in Loop: Header=BB2_670 Depth=2
	ds_read_b64 v[10:11], v0 offset:872
	s_waitcnt lgkmcnt(0)
	v_add_co_u32 v10, vcc_lo, v10, 1
	v_add_co_ci_u32_e64 v11, null, 0, v11, vcc_lo
	ds_write_b64 v0, v[10:11] offset:872
.LBB2_695:                              ;   in Loop: Header=BB2_670 Depth=2
	s_or_b32 exec_lo, exec_lo, s16
	v_mov_b32_e32 v39, v9
	v_mov_b32_e32 v38, v8
.LBB2_696:                              ;   in Loop: Header=BB2_670 Depth=2
	s_or_b32 exec_lo, exec_lo, s21
	s_xor_b32 s16, s19, -1
	s_and_b32 s16, exec_lo, s16
	s_or_b32 s18, s16, s18
	s_and_saveexec_b32 s16, s6
	s_cbranch_execz .LBB2_715
; %bb.697:                              ;   in Loop: Header=BB2_670 Depth=2
	s_and_saveexec_b32 s19, s29
	s_xor_b32 s19, exec_lo, s19
	s_cbranch_execz .LBB2_712
; %bb.698:                              ;   in Loop: Header=BB2_670 Depth=2
	s_and_saveexec_b32 s21, s11
	s_cbranch_execz .LBB2_711
; %bb.699:                              ;   in Loop: Header=BB2_670 Depth=2
	s_mov_b32 s23, exec_lo
	s_mov_b32 s22, exec_lo
	v_mbcnt_lo_u32_b32 v8, s23, 0
	s_waitcnt vmcnt(0) lgkmcnt(0)
	s_waitcnt_vscnt null, 0x0
	buffer_gl1_inv
	buffer_gl0_inv
	v_cmpx_eq_u32_e32 0, v8
	s_cbranch_execz .LBB2_701
; %bb.700:                              ;   in Loop: Header=BB2_670 Depth=2
	s_bcnt1_i32_b32 s23, s23
	v_mov_b32_e32 v9, v2
	v_mov_b32_e32 v8, s23
	ds_add_u64 v0, v[8:9]
	s_trap 2
.LBB2_701:                              ;   in Loop: Header=BB2_670 Depth=2
	s_or_b32 exec_lo, exec_lo, s22
	s_trap 2
	ds_read_b64 v[8:9], v0
	s_waitcnt lgkmcnt(0)
	buffer_gl0_inv
	v_add_co_u32 v12, vcc_lo, v12, v81
	v_add_co_ci_u32_e64 v13, null, 0, v13, vcc_lo
	s_mov_b32 s22, exec_lo
	v_cmpx_lt_u64_e64 v[8:9], v[12:13]
	s_cbranch_execz .LBB2_710
; %bb.702:                              ;   in Loop: Header=BB2_670 Depth=2
	s_mov_b32 s23, 0
	s_mov_b32 s63, 0
                                        ; implicit-def: $sgpr61
                                        ; implicit-def: $sgpr62
	s_inst_prefetch 0x1
	s_branch .LBB2_704
	.p2align	6
.LBB2_703:                              ;   in Loop: Header=BB2_704 Depth=3
	s_or_b32 exec_lo, exec_lo, s73
	s_and_b32 s72, exec_lo, s74
	s_or_b32 s23, s72, s23
	s_andn2_b32 s61, s61, exec_lo
	s_and_b32 s72, s62, exec_lo
	s_or_b32 s61, s61, s72
	s_andn2_b32 exec_lo, exec_lo, s23
	s_cbranch_execz .LBB2_708
.LBB2_704:                              ;   Parent Loop BB2_47 Depth=1
                                        ;     Parent Loop BB2_670 Depth=2
                                        ; =>    This Inner Loop Header: Depth=3
	s_add_i32 s63, s63, 1
	s_cmpk_lg_i32 s63, 0x2710
	s_cselect_b32 s72, -1, 0
	s_and_b32 vcc_lo, exec_lo, s72
	s_cbranch_vccz .LBB2_706
; %bb.705:                              ;   in Loop: Header=BB2_704 Depth=3
	s_mov_b32 s74, -1
	s_or_b32 s62, s62, exec_lo
	s_and_saveexec_b32 s73, s72
	s_cbranch_execz .LBB2_703
	s_branch .LBB2_707
	.p2align	6
.LBB2_706:                              ;   in Loop: Header=BB2_704 Depth=3
	s_trap 2
	ds_read_b64 v[8:9], v0
	s_andn2_b32 s72, s72, exec_lo
	s_mov_b32 s63, 0
	s_waitcnt lgkmcnt(0)
	flat_load_dword v8, v[8:9] glc dlc
	s_waitcnt vmcnt(0) lgkmcnt(0)
	buffer_gl1_inv
	buffer_gl0_inv
	v_cmp_eq_u32_e32 vcc_lo, 0, v8
	s_and_b32 s73, vcc_lo, exec_lo
	s_or_b32 s72, s72, s73
	s_mov_b32 s74, -1
	s_or_b32 s62, s62, exec_lo
	s_and_saveexec_b32 s73, s72
	s_cbranch_execz .LBB2_703
.LBB2_707:                              ;   in Loop: Header=BB2_704 Depth=3
	s_sleep 1
	s_trap 2
	ds_read_b64 v[8:9], v0
	s_waitcnt lgkmcnt(0)
	buffer_gl0_inv
	s_andn2_b32 s62, s62, exec_lo
	v_cmp_ge_u64_e32 vcc_lo, v[8:9], v[12:13]
	s_orn2_b32 s74, vcc_lo, exec_lo
	s_branch .LBB2_703
.LBB2_708:                              ;   in Loop: Header=BB2_670 Depth=2
	s_inst_prefetch 0x2
	s_or_b32 exec_lo, exec_lo, s23
	s_and_saveexec_b32 s23, s61
	s_xor_b32 s23, exec_lo, s23
	s_cbranch_execz .LBB2_710
; %bb.709:                              ;   in Loop: Header=BB2_670 Depth=2
	ds_write_b32 v0, v86
	s_trap 2
.LBB2_710:                              ;   in Loop: Header=BB2_670 Depth=2
	s_or_b32 exec_lo, exec_lo, s22
	;;#ASMSTART
	s_wakeup
	;;#ASMEND
.LBB2_711:                              ;   in Loop: Header=BB2_670 Depth=2
	s_or_b32 exec_lo, exec_lo, s21
.LBB2_712:                              ;   in Loop: Header=BB2_670 Depth=2
	s_andn2_saveexec_b32 s19, s19
	s_cbranch_execz .LBB2_714
; %bb.713:                              ;   in Loop: Header=BB2_670 Depth=2
	s_waitcnt vmcnt(0) lgkmcnt(0)
	s_waitcnt_vscnt null, 0x0
	buffer_gl1_inv
	buffer_gl0_inv
	s_barrier
.LBB2_714:                              ;   in Loop: Header=BB2_670 Depth=2
	s_or_b32 exec_lo, exec_lo, s19
.LBB2_715:                              ;   in Loop: Header=BB2_670 Depth=2
	s_or_b32 exec_lo, exec_lo, s16
	v_and_b32_e32 v8, 16, v71
	s_and_saveexec_b32 s16, s15
	s_xor_b32 s19, exec_lo, s16
	s_cbranch_execz .LBB2_719
; %bb.716:                              ;   in Loop: Header=BB2_670 Depth=2
	s_trap 2
	ds_read_b32 v8, v0
	v_cmp_lt_i32_e32 vcc_lo, 0, v50
	s_waitcnt lgkmcnt(0)
	v_readfirstlane_b32 s16, v8
	v_and_b32_e32 v8, 16, v71
	s_cmp_eq_u32 s16, 0
	v_cmp_ne_u32_e64 s16, 0, v8
	s_cselect_b32 s21, -1, 0
	v_and_b32_e32 v8, 16, v71
	s_and_b32 s21, vcc_lo, s21
	s_and_b32 s21, s16, s21
	s_and_saveexec_b32 s16, s21
	s_cbranch_execz .LBB2_718
; %bb.717:                              ;   in Loop: Header=BB2_670 Depth=2
	v_mov_b32_e32 v8, 1
	s_waitcnt vmcnt(0)
	s_waitcnt_vscnt null, 0x0
	buffer_gl1_inv
	buffer_gl0_inv
.LBB2_718:                              ;   in Loop: Header=BB2_670 Depth=2
	s_or_b32 exec_lo, exec_lo, s16
.LBB2_719:                              ;   in Loop: Header=BB2_670 Depth=2
	s_andn2_saveexec_b32 s16, s19
	s_cbranch_execz .LBB2_738
; %bb.720:                              ;   in Loop: Header=BB2_670 Depth=2
	s_and_saveexec_b32 s19, s29
	s_xor_b32 s19, exec_lo, s19
	s_cbranch_execz .LBB2_735
; %bb.721:                              ;   in Loop: Header=BB2_670 Depth=2
	s_and_saveexec_b32 s21, s11
	s_cbranch_execz .LBB2_734
; %bb.722:                              ;   in Loop: Header=BB2_670 Depth=2
	s_mov_b32 s23, exec_lo
	s_mov_b32 s22, exec_lo
	v_mbcnt_lo_u32_b32 v9, s23, 0
	;;#ASMSTART
	s_waitcnt lgkmcnt(0) vmcnt(0)
	;;#ASMEND
	v_cmpx_eq_u32_e32 0, v9
	s_cbranch_execz .LBB2_724
; %bb.723:                              ;   in Loop: Header=BB2_670 Depth=2
	s_bcnt1_i32_b32 s23, s23
	v_mov_b32_e32 v10, v2
	v_mov_b32_e32 v9, s23
	s_waitcnt vmcnt(0) lgkmcnt(0)
	s_waitcnt_vscnt null, 0x0
	ds_add_u64 v0, v[9:10]
	s_trap 2
.LBB2_724:                              ;   in Loop: Header=BB2_670 Depth=2
	s_or_b32 exec_lo, exec_lo, s22
	s_trap 2
	ds_read_b64 v[9:10], v0
	s_waitcnt vmcnt(0) lgkmcnt(0)
	buffer_gl0_inv
	v_add_co_u32 v12, vcc_lo, v12, v81
	v_add_co_ci_u32_e64 v13, null, 0, v13, vcc_lo
	s_mov_b32 s22, exec_lo
	v_cmpx_lt_u64_e64 v[9:10], v[12:13]
	s_cbranch_execz .LBB2_733
; %bb.725:                              ;   in Loop: Header=BB2_670 Depth=2
	s_mov_b32 s23, 0
	s_mov_b32 s63, 0
                                        ; implicit-def: $sgpr61
                                        ; implicit-def: $sgpr62
	s_inst_prefetch 0x1
	s_branch .LBB2_727
	.p2align	6
.LBB2_726:                              ;   in Loop: Header=BB2_727 Depth=3
	s_or_b32 exec_lo, exec_lo, s73
	s_and_b32 s72, exec_lo, s74
	s_or_b32 s23, s72, s23
	s_andn2_b32 s61, s61, exec_lo
	s_and_b32 s72, s62, exec_lo
	s_or_b32 s61, s61, s72
	s_andn2_b32 exec_lo, exec_lo, s23
	s_cbranch_execz .LBB2_731
.LBB2_727:                              ;   Parent Loop BB2_47 Depth=1
                                        ;     Parent Loop BB2_670 Depth=2
                                        ; =>    This Inner Loop Header: Depth=3
	s_add_i32 s63, s63, 1
	s_cmpk_lg_i32 s63, 0x2710
	s_cselect_b32 s72, -1, 0
	s_and_b32 vcc_lo, exec_lo, s72
	s_cbranch_vccz .LBB2_729
; %bb.728:                              ;   in Loop: Header=BB2_727 Depth=3
	s_mov_b32 s74, -1
	s_or_b32 s62, s62, exec_lo
	s_and_saveexec_b32 s73, s72
	s_cbranch_execz .LBB2_726
	s_branch .LBB2_730
	.p2align	6
.LBB2_729:                              ;   in Loop: Header=BB2_727 Depth=3
	s_trap 2
	ds_read_b64 v[9:10], v0
	s_andn2_b32 s72, s72, exec_lo
	s_mov_b32 s63, 0
	s_waitcnt lgkmcnt(0)
	s_waitcnt_vscnt null, 0x0
	flat_load_dword v9, v[9:10] glc dlc
	s_waitcnt vmcnt(0) lgkmcnt(0)
	buffer_gl1_inv
	buffer_gl0_inv
	v_cmp_eq_u32_e32 vcc_lo, 0, v9
	s_and_b32 s73, vcc_lo, exec_lo
	s_or_b32 s72, s72, s73
	s_mov_b32 s74, -1
	s_or_b32 s62, s62, exec_lo
	s_and_saveexec_b32 s73, s72
	s_cbranch_execz .LBB2_726
.LBB2_730:                              ;   in Loop: Header=BB2_727 Depth=3
	s_sleep 1
	s_trap 2
	ds_read_b64 v[9:10], v0
	s_waitcnt lgkmcnt(0)
	buffer_gl0_inv
	s_andn2_b32 s62, s62, exec_lo
	v_cmp_ge_u64_e32 vcc_lo, v[9:10], v[12:13]
	s_orn2_b32 s74, vcc_lo, exec_lo
	s_branch .LBB2_726
.LBB2_731:                              ;   in Loop: Header=BB2_670 Depth=2
	s_inst_prefetch 0x2
	s_or_b32 exec_lo, exec_lo, s23
	s_and_saveexec_b32 s23, s61
	s_xor_b32 s23, exec_lo, s23
	s_cbranch_execz .LBB2_733
; %bb.732:                              ;   in Loop: Header=BB2_670 Depth=2
	ds_write_b32 v0, v86
	s_trap 2
.LBB2_733:                              ;   in Loop: Header=BB2_670 Depth=2
	s_or_b32 exec_lo, exec_lo, s22
	;;#ASMSTART
	s_wakeup
	;;#ASMEND
.LBB2_734:                              ;   in Loop: Header=BB2_670 Depth=2
	s_or_b32 exec_lo, exec_lo, s21
.LBB2_735:                              ;   in Loop: Header=BB2_670 Depth=2
	s_andn2_saveexec_b32 s19, s19
	s_cbranch_execz .LBB2_737
; %bb.736:                              ;   in Loop: Header=BB2_670 Depth=2
	;;#ASMSTART
	s_waitcnt lgkmcnt(0) vmcnt(0)
	;;#ASMEND
	s_barrier
.LBB2_737:                              ;   in Loop: Header=BB2_670 Depth=2
	s_or_b32 exec_lo, exec_lo, s19
.LBB2_738:                              ;   in Loop: Header=BB2_670 Depth=2
	s_or_b32 exec_lo, exec_lo, s16
	v_cmp_ne_u32_e32 vcc_lo, 0, v8
	s_xor_b32 s16, s7, -1
	s_and_b32 s19, vcc_lo, s16
	s_and_saveexec_b32 s16, s19
	s_cbranch_execz .LBB2_740
; %bb.739:                              ;   in Loop: Header=BB2_670 Depth=2
	s_waitcnt vmcnt(0) lgkmcnt(0)
	s_waitcnt_vscnt null, 0x0
	flat_store_dword v[24:25], v86
.LBB2_740:                              ;   in Loop: Header=BB2_670 Depth=2
	s_or_b32 exec_lo, exec_lo, s16
	v_and_b32_e32 v8, 48, v71
	s_mov_b32 s16, exec_lo
	v_cmpx_ne_u32_e32 0, v8
	s_cbranch_execz .LBB2_669
; %bb.741:                              ;   in Loop: Header=BB2_670 Depth=2
	v_add_co_u32 v38, vcc_lo, v38, 2
	v_add_co_ci_u32_e64 v39, null, 0, v39, vcc_lo
	s_waitcnt vmcnt(0) lgkmcnt(0)
	s_waitcnt_vscnt null, 0x0
	flat_store_dwordx2 v[20:21], v[38:39]
	s_branch .LBB2_669
.LBB2_742:                              ;   in Loop: Header=BB2_47 Depth=1
	s_or_b32 exec_lo, exec_lo, s18
.LBB2_743:                              ;   in Loop: Header=BB2_47 Depth=1
	s_or_b32 exec_lo, exec_lo, s17
	s_andn2_b32 vcc_lo, exec_lo, s46
	s_cbranch_vccnz .LBB2_1002
; %bb.744:                              ;   in Loop: Header=BB2_47 Depth=1
	s_mov_b32 s21, 1
.LBB2_745:                              ;   Parent Loop BB2_47 Depth=1
                                        ; =>  This Loop Header: Depth=2
                                        ;       Child Loop BB2_748 Depth 3
                                        ;         Child Loop BB2_756 Depth 4
                                        ;         Child Loop BB2_784 Depth 4
                                        ;         Child Loop BB2_803 Depth 4
                                        ;         Child Loop BB2_826 Depth 4
                                        ;           Child Loop BB2_827 Depth 5
                                        ;         Child Loop BB2_833 Depth 4
                                        ;           Child Loop BB2_834 Depth 5
                                        ;         Child Loop BB2_841 Depth 4
                                        ;         Child Loop BB2_846 Depth 4
                                        ;           Child Loop BB2_847 Depth 5
                                        ;         Child Loop BB2_859 Depth 4
                                        ;         Child Loop BB2_864 Depth 4
	;; [unrolled: 1-line block ×6, first 2 shown]
                                        ;       Child Loop BB2_927 Depth 3
                                        ;         Child Loop BB2_933 Depth 4
                                        ;         Child Loop BB2_961 Depth 4
                                        ;         Child Loop BB2_984 Depth 4
	s_sub_i32 s16, s42, s21
	v_mov_b32_e32 v55, 0
	s_cmp_ge_i32 s16, s25
	s_mov_b32 s62, 0
	s_cselect_b32 s17, s25, 0
	s_sub_i32 s16, s16, s17
	s_ashr_i32 s17, s16, 31
	v_mul_lo_u32 v3, v37, s16
	v_mad_u64_u32 v[8:9], null, v36, s16, 0
	v_mul_lo_u32 v10, v36, s17
	v_add3_u32 v9, v9, v10, v3
	v_sub_co_u32 v10, vcc_lo, v48, v8
	v_sub_co_ci_u32_e64 v11, null, v49, v9, vcc_lo
	v_cmp_lt_i64_e32 vcc_lo, v[36:37], v[10:11]
	v_cndmask_b32_e32 v11, v10, v36, vcc_lo
	v_max_i32_e32 v3, 0, v11
	v_cmp_lt_i32_e32 vcc_lo, 0, v11
	v_add_nc_u32_e32 v10, 31, v3
	s_and_b32 s16, s57, vcc_lo
	v_lshrrev_b32_e32 v10, 1, v10
	v_and_b32_e32 v50, 0x3ffffff0, v10
	v_mov_b32_e32 v10, 0
	v_max_i32_e32 v50, s45, v50
	s_and_saveexec_b32 s61, s16
	s_cbranch_execz .LBB2_924
; %bb.746:                              ;   in Loop: Header=BB2_745 Depth=2
	v_add_co_u32 v68, vcc_lo, v8, v116
	v_add_co_ci_u32_e64 v69, null, v9, v117, vcc_lo
	v_mov_b32_e32 v55, 0
	s_mov_b32 s72, 1
	s_mov_b32 s63, -1
	s_branch .LBB2_748
.LBB2_747:                              ;   in Loop: Header=BB2_748 Depth=3
	s_or_b32 exec_lo, exec_lo, s16
	v_add_nc_u32_e32 v55, v50, v55
	s_xor_b32 s16, s63, -1
	v_mov_b32_e32 v10, s72
	s_mov_b32 s63, 0
	s_mov_b32 s72, 2
	v_cmp_ge_i32_e32 vcc_lo, v55, v3
	s_or_b32 s16, s16, vcc_lo
	s_and_b32 s16, exec_lo, s16
	s_or_b32 s62, s16, s62
	s_andn2_b32 exec_lo, exec_lo, s62
	s_cbranch_execz .LBB2_923
.LBB2_748:                              ;   Parent Loop BB2_47 Depth=1
                                        ;     Parent Loop BB2_745 Depth=2
                                        ; =>    This Loop Header: Depth=3
                                        ;         Child Loop BB2_756 Depth 4
                                        ;         Child Loop BB2_784 Depth 4
	;; [unrolled: 1-line block ×4, first 2 shown]
                                        ;           Child Loop BB2_827 Depth 5
                                        ;         Child Loop BB2_833 Depth 4
                                        ;           Child Loop BB2_834 Depth 5
                                        ;         Child Loop BB2_841 Depth 4
                                        ;         Child Loop BB2_846 Depth 4
                                        ;           Child Loop BB2_847 Depth 5
                                        ;         Child Loop BB2_859 Depth 4
                                        ;         Child Loop BB2_864 Depth 4
	;; [unrolled: 1-line block ×6, first 2 shown]
	s_and_saveexec_b32 s17, s4
	s_cbranch_execz .LBB2_750
; %bb.749:                              ;   in Loop: Header=BB2_748 Depth=3
	s_trap 2
	ds_read_b128 v[8:11], v0
	v_ashrrev_i32_e32 v51, 31, v55
	s_waitcnt lgkmcnt(0)
	v_add_co_u32 v52, vcc_lo, v10, v68
	v_add_co_ci_u32_e64 v53, null, v11, v69, vcc_lo
	v_add_co_u32 v8, vcc_lo, v8, v68
	v_add_co_ci_u32_e64 v9, null, v9, v69, vcc_lo
	;; [unrolled: 2-line block ×3, first 2 shown]
	v_cmp_ne_u64_e32 vcc_lo, 0, v[10:11]
	v_add_co_u32 v8, s16, v8, v55
	v_add_co_ci_u32_e64 v9, null, v9, v51, s16
	v_cndmask_b32_e32 v11, 0, v53, vcc_lo
	v_cndmask_b32_e32 v10, 0, v52, vcc_lo
	ds_write_b64 v0, v[8:9]
	ds_write_b64 v0, v[10:11]
.LBB2_750:                              ;   in Loop: Header=BB2_748 Depth=3
	s_or_b32 exec_lo, exec_lo, s17
	v_sub_nc_u32_e32 v8, v3, v55
	v_and_b32_e32 v9, 12, v71
	s_mov_b32 s17, exec_lo
	v_min_i32_e32 v50, v50, v8
	v_cmpx_ne_u32_e32 0, v9
	s_cbranch_execz .LBB2_776
; %bb.751:                              ;   in Loop: Header=BB2_748 Depth=3
	v_and_b32_e32 v53, 8, v71
	s_mov_b32 s18, exec_lo
	s_waitcnt vmcnt(0) lgkmcnt(1)
	v_add_co_u32 v10, vcc_lo, v26, v53
	v_add_co_ci_u32_e64 v11, null, 0, v27, vcc_lo
	v_add_co_u32 v8, vcc_lo, v38, 2
	v_add_co_ci_u32_e64 v9, null, 0, v39, vcc_lo
	v_cmpx_lt_u64_e64 v[10:11], v[8:9]
	s_cbranch_execz .LBB2_763
; %bb.752:                              ;   in Loop: Header=BB2_748 Depth=3
	v_and_b32_e32 v10, 64, v71
	s_mov_b32 s19, 0
	s_mov_b32 s74, 0
                                        ; implicit-def: $sgpr22
                                        ; implicit-def: $sgpr23
                                        ; implicit-def: $sgpr73
	v_cmp_eq_u32_e32 vcc_lo, 0, v10
	s_branch .LBB2_756
.LBB2_753:                              ;   in Loop: Header=BB2_756 Depth=4
	s_waitcnt vmcnt(0) lgkmcnt(0)
	v_add_co_u32 v51, s16, v26, v53
	v_add_co_ci_u32_e64 v52, null, 0, v27, s16
	s_or_b32 s77, s77, exec_lo
	v_cmp_ge_u64_e64 s16, v[51:52], v[8:9]
	s_orn2_b32 s76, s16, exec_lo
.LBB2_754:                              ;   in Loop: Header=BB2_756 Depth=4
	s_or_b32 exec_lo, exec_lo, s79
	s_andn2_b32 s16, s73, exec_lo
	s_and_b32 s73, s77, exec_lo
	s_andn2_b32 s23, s23, exec_lo
	s_and_b32 s76, s76, exec_lo
	s_or_b32 s73, s16, s73
	s_or_b32 s23, s23, s76
.LBB2_755:                              ;   in Loop: Header=BB2_756 Depth=4
	s_or_b32 exec_lo, exec_lo, s75
	s_and_b32 s16, exec_lo, s23
	s_or_b32 s19, s16, s19
	s_andn2_b32 s16, s22, exec_lo
	s_and_b32 s22, s73, exec_lo
	s_or_b32 s22, s16, s22
	s_andn2_b32 exec_lo, exec_lo, s19
	s_cbranch_execz .LBB2_760
.LBB2_756:                              ;   Parent Loop BB2_47 Depth=1
                                        ;     Parent Loop BB2_745 Depth=2
                                        ;       Parent Loop BB2_748 Depth=3
                                        ; =>      This Inner Loop Header: Depth=4
	s_sleep 1
	s_waitcnt vmcnt(0) lgkmcnt(0)
	flat_load_dwordx2 v[26:27], v[20:21] glc dlc
	s_or_b32 s73, s73, exec_lo
	s_or_b32 s23, s23, exec_lo
                                        ; implicit-def: $vgpr10
	s_and_saveexec_b32 s75, vcc_lo
	s_cbranch_execz .LBB2_755
; %bb.757:                              ;   in Loop: Header=BB2_756 Depth=4
	s_cmpk_lt_i32 s74, 0x270f
	s_mov_b32 s76, -1
	s_cselect_b32 s78, -1, 0
	s_cmpk_gt_i32 s74, 0x270e
	s_cbranch_scc0 .LBB2_759
; %bb.758:                              ;   in Loop: Header=BB2_756 Depth=4
	s_trap 2
	ds_read_b64 v[10:11], v0
	s_andn2_b32 s74, s78, exec_lo
	s_mov_b32 s77, 0
	s_waitcnt vmcnt(0) lgkmcnt(0)
	s_waitcnt_vscnt null, 0x0
	flat_load_dword v10, v[10:11] glc dlc
	s_waitcnt vmcnt(0) lgkmcnt(0)
	buffer_gl1_inv
	buffer_gl0_inv
	v_cmp_eq_u32_e64 s16, 0, v10
	s_and_b32 s16, s16, exec_lo
	s_or_b32 s78, s74, s16
	s_mov_b32 s74, 0
	s_and_saveexec_b32 s79, s78
	s_cbranch_execz .LBB2_754
	s_branch .LBB2_753
.LBB2_759:                              ;   in Loop: Header=BB2_756 Depth=4
	s_add_i32 s74, s74, 1
	s_mov_b32 s77, -1
                                        ; implicit-def: $vgpr10
	s_and_saveexec_b32 s79, s78
	s_cbranch_execz .LBB2_754
	s_branch .LBB2_753
.LBB2_760:                              ;   in Loop: Header=BB2_748 Depth=3
	s_or_b32 exec_lo, exec_lo, s19
	s_xor_b32 s16, s22, -1
	s_and_saveexec_b32 s19, s16
	s_xor_b32 s16, exec_lo, s19
	s_cbranch_execz .LBB2_762
; %bb.761:                              ;   in Loop: Header=BB2_748 Depth=3
	v_or_b32_e32 v71, 64, v71
	s_waitcnt vmcnt(0) lgkmcnt(0)
	s_waitcnt_vscnt null, 0x0
	ds_write_b32 v0, v10
	s_trap 2
.LBB2_762:                              ;   in Loop: Header=BB2_748 Depth=3
	s_or_b32 exec_lo, exec_lo, s16
.LBB2_763:                              ;   in Loop: Header=BB2_748 Depth=3
	s_or_b32 exec_lo, exec_lo, s18
	v_and_b32_e32 v10, 0x108, v71
	;;#ASMSTART
	s_wakeup
	;;#ASMEND
	v_cmp_ne_u32_e32 vcc_lo, 0x108, v10
                                        ; implicit-def: $vgpr10_vgpr11
	s_and_saveexec_b32 s16, vcc_lo
	s_xor_b32 s16, exec_lo, s16
; %bb.764:                              ;   in Loop: Header=BB2_748 Depth=3
	v_and_b32_e32 v10, 7, v38
	v_mov_b32_e32 v11, v2
                                        ; implicit-def: $vgpr38_vgpr39
; %bb.765:                              ;   in Loop: Header=BB2_748 Depth=3
	s_andn2_saveexec_b32 s16, s16
	s_cbranch_execz .LBB2_767
; %bb.766:                              ;   in Loop: Header=BB2_748 Depth=3
	v_and_b32_e32 v10, 7, v38
	v_ashrrev_i32_e32 v51, 31, v50
	v_mov_b32_e32 v11, v2
	v_mad_u64_u32 v[38:39], null, v10, 24, v[6:7]
	flat_store_dwordx2 v[38:39], v[50:51] offset:8
.LBB2_767:                              ;   in Loop: Header=BB2_748 Depth=3
	s_or_b32 exec_lo, exec_lo, s16
	v_and_b32_e32 v38, 0x100, v71
	s_mov_b32 s16, -1
	v_cmp_ne_u32_e32 vcc_lo, 0, v38
                                        ; implicit-def: $vgpr38_vgpr39
	s_and_saveexec_b32 s18, vcc_lo
	s_cbranch_execz .LBB2_771
; %bb.768:                              ;   in Loop: Header=BB2_748 Depth=3
	v_mad_u64_u32 v[51:52], null, v10, 24, v[6:7]
	v_mov_b32_e32 v38, v52
	v_mad_u64_u32 v[38:39], null, v11, 24, v[38:39]
	v_mov_b32_e32 v52, v38
	flat_load_dword v38, v[51:52]
	s_waitcnt vmcnt(0) lgkmcnt(0)
	v_cmp_eq_u32_e64 s16, 1, v38
	v_cmp_ne_u32_e32 vcc_lo, 1, v38
                                        ; implicit-def: $vgpr38_vgpr39
	s_and_saveexec_b32 s19, s16
	s_cbranch_execz .LBB2_770
; %bb.769:                              ;   in Loop: Header=BB2_748 Depth=3
	flat_load_dword v38, v[51:52] offset:4 glc dlc
	s_waitcnt vmcnt(0) lgkmcnt(0)
	v_ashrrev_i32_e32 v39, 31, v38
.LBB2_770:                              ;   in Loop: Header=BB2_748 Depth=3
	s_or_b32 exec_lo, exec_lo, s19
	s_orn2_b32 s16, vcc_lo, exec_lo
.LBB2_771:                              ;   in Loop: Header=BB2_748 Depth=3
	s_or_b32 exec_lo, exec_lo, s18
	s_and_saveexec_b32 s18, s16
; %bb.772:                              ;   in Loop: Header=BB2_748 Depth=3
	v_mul_lo_u32 v11, v11, v80
	v_mul_lo_u32 v51, v10, v30
	v_mad_u64_u32 v[38:39], null, v10, v80, 0
	v_add3_u32 v39, v39, v51, v11
; %bb.773:                              ;   in Loop: Header=BB2_748 Depth=3
	s_or_b32 exec_lo, exec_lo, s18
	v_cmp_eq_u32_e32 vcc_lo, 0, v53
	v_and_b32_e32 v52, 0x2000, v71
	s_mov_b32 s16, exec_lo
	v_cndmask_b32_e32 v51, 0xd0, v96, vcc_lo
	v_add_co_u32 v10, vcc_lo, v22, v38
	v_add_co_ci_u32_e64 v11, null, v23, v39, vcc_lo
	v_add_nc_u32_e32 v38, v0, v51
	ds_write_b64 v38, v[10:11] offset:584
	v_cmpx_ne_u32_e32 0, v52
	s_cbranch_execz .LBB2_775
; %bb.774:                              ;   in Loop: Header=BB2_748 Depth=3
	ds_read_b64 v[10:11], v0 offset:872
	s_waitcnt lgkmcnt(0)
	v_add_co_u32 v10, vcc_lo, v10, 1
	v_add_co_ci_u32_e64 v11, null, 0, v11, vcc_lo
	ds_write_b64 v0, v[10:11] offset:872
.LBB2_775:                              ;   in Loop: Header=BB2_748 Depth=3
	s_or_b32 exec_lo, exec_lo, s16
	v_mov_b32_e32 v39, v9
	v_mov_b32_e32 v38, v8
.LBB2_776:                              ;   in Loop: Header=BB2_748 Depth=3
	s_or_b32 exec_lo, exec_lo, s17
	s_and_saveexec_b32 s16, s6
	s_cbranch_execz .LBB2_795
; %bb.777:                              ;   in Loop: Header=BB2_748 Depth=3
	s_and_saveexec_b32 s17, s29
	s_xor_b32 s17, exec_lo, s17
	s_cbranch_execz .LBB2_792
; %bb.778:                              ;   in Loop: Header=BB2_748 Depth=3
	s_and_saveexec_b32 s18, s11
	s_cbranch_execz .LBB2_791
; %bb.779:                              ;   in Loop: Header=BB2_748 Depth=3
	s_mov_b32 s22, exec_lo
	s_mov_b32 s19, exec_lo
	v_mbcnt_lo_u32_b32 v8, s22, 0
	s_waitcnt vmcnt(0) lgkmcnt(0)
	s_waitcnt_vscnt null, 0x0
	buffer_gl1_inv
	buffer_gl0_inv
	v_cmpx_eq_u32_e32 0, v8
	s_cbranch_execz .LBB2_781
; %bb.780:                              ;   in Loop: Header=BB2_748 Depth=3
	s_bcnt1_i32_b32 s22, s22
	v_mov_b32_e32 v9, v2
	v_mov_b32_e32 v8, s22
	ds_add_u64 v0, v[8:9]
	s_trap 2
.LBB2_781:                              ;   in Loop: Header=BB2_748 Depth=3
	s_or_b32 exec_lo, exec_lo, s19
	s_trap 2
	ds_read_b64 v[8:9], v0
	s_waitcnt lgkmcnt(0)
	buffer_gl0_inv
	v_add_co_u32 v12, vcc_lo, v12, v81
	v_add_co_ci_u32_e64 v13, null, 0, v13, vcc_lo
	s_mov_b32 s19, exec_lo
	v_cmpx_lt_u64_e64 v[8:9], v[12:13]
	s_cbranch_execz .LBB2_790
; %bb.782:                              ;   in Loop: Header=BB2_748 Depth=3
	s_mov_b32 s22, 0
	s_mov_b32 s74, 0
                                        ; implicit-def: $sgpr23
                                        ; implicit-def: $sgpr73
	s_inst_prefetch 0x1
	s_branch .LBB2_784
	.p2align	6
.LBB2_783:                              ;   in Loop: Header=BB2_784 Depth=4
	s_or_b32 exec_lo, exec_lo, s76
	s_and_b32 s75, exec_lo, s77
	s_or_b32 s22, s75, s22
	s_andn2_b32 s23, s23, exec_lo
	s_and_b32 s75, s73, exec_lo
	s_or_b32 s23, s23, s75
	s_andn2_b32 exec_lo, exec_lo, s22
	s_cbranch_execz .LBB2_788
.LBB2_784:                              ;   Parent Loop BB2_47 Depth=1
                                        ;     Parent Loop BB2_745 Depth=2
                                        ;       Parent Loop BB2_748 Depth=3
                                        ; =>      This Inner Loop Header: Depth=4
	s_add_i32 s74, s74, 1
	s_cmpk_lg_i32 s74, 0x2710
	s_cselect_b32 s75, -1, 0
	s_and_b32 vcc_lo, exec_lo, s75
	s_cbranch_vccz .LBB2_786
; %bb.785:                              ;   in Loop: Header=BB2_784 Depth=4
	s_mov_b32 s77, -1
	s_or_b32 s73, s73, exec_lo
	s_and_saveexec_b32 s76, s75
	s_cbranch_execz .LBB2_783
	s_branch .LBB2_787
	.p2align	6
.LBB2_786:                              ;   in Loop: Header=BB2_784 Depth=4
	s_trap 2
	ds_read_b64 v[8:9], v0
	s_andn2_b32 s75, s75, exec_lo
	s_mov_b32 s74, 0
	s_waitcnt lgkmcnt(0)
	flat_load_dword v8, v[8:9] glc dlc
	s_waitcnt vmcnt(0) lgkmcnt(0)
	buffer_gl1_inv
	buffer_gl0_inv
	v_cmp_eq_u32_e32 vcc_lo, 0, v8
	s_and_b32 s76, vcc_lo, exec_lo
	s_or_b32 s75, s75, s76
	s_mov_b32 s77, -1
	s_or_b32 s73, s73, exec_lo
	s_and_saveexec_b32 s76, s75
	s_cbranch_execz .LBB2_783
.LBB2_787:                              ;   in Loop: Header=BB2_784 Depth=4
	s_sleep 1
	s_trap 2
	ds_read_b64 v[8:9], v0
	s_waitcnt lgkmcnt(0)
	buffer_gl0_inv
	s_andn2_b32 s73, s73, exec_lo
	v_cmp_ge_u64_e32 vcc_lo, v[8:9], v[12:13]
	s_orn2_b32 s77, vcc_lo, exec_lo
	s_branch .LBB2_783
.LBB2_788:                              ;   in Loop: Header=BB2_748 Depth=3
	s_inst_prefetch 0x2
	s_or_b32 exec_lo, exec_lo, s22
	s_and_saveexec_b32 s22, s23
	s_xor_b32 s22, exec_lo, s22
	s_cbranch_execz .LBB2_790
; %bb.789:                              ;   in Loop: Header=BB2_748 Depth=3
	ds_write_b32 v0, v86
	s_trap 2
.LBB2_790:                              ;   in Loop: Header=BB2_748 Depth=3
	s_or_b32 exec_lo, exec_lo, s19
	;;#ASMSTART
	s_wakeup
	;;#ASMEND
.LBB2_791:                              ;   in Loop: Header=BB2_748 Depth=3
	s_or_b32 exec_lo, exec_lo, s18
.LBB2_792:                              ;   in Loop: Header=BB2_748 Depth=3
	s_andn2_saveexec_b32 s17, s17
	s_cbranch_execz .LBB2_794
; %bb.793:                              ;   in Loop: Header=BB2_748 Depth=3
	s_waitcnt vmcnt(0) lgkmcnt(0)
	s_waitcnt_vscnt null, 0x0
	buffer_gl1_inv
	buffer_gl0_inv
	s_barrier
.LBB2_794:                              ;   in Loop: Header=BB2_748 Depth=3
	s_or_b32 exec_lo, exec_lo, s17
.LBB2_795:                              ;   in Loop: Header=BB2_748 Depth=3
	s_or_b32 exec_lo, exec_lo, s16
	s_trap 2
	ds_read_b32 v8, v0
	v_and_b32_e32 v9, 0x4000, v71
	s_xor_b32 s16, s5, -1
	v_cmp_ne_u32_e32 vcc_lo, 0, v9
	s_and_b32 s17, s16, vcc_lo
	s_and_saveexec_b32 s16, s17
	s_cbranch_execz .LBB2_814
; %bb.796:                              ;   in Loop: Header=BB2_748 Depth=3
	s_and_saveexec_b32 s17, s29
	s_xor_b32 s17, exec_lo, s17
	s_cbranch_execz .LBB2_811
; %bb.797:                              ;   in Loop: Header=BB2_748 Depth=3
	s_and_saveexec_b32 s18, s11
	s_cbranch_execz .LBB2_810
; %bb.798:                              ;   in Loop: Header=BB2_748 Depth=3
	s_mov_b32 s22, exec_lo
	s_mov_b32 s19, exec_lo
	v_mbcnt_lo_u32_b32 v9, s22, 0
	s_waitcnt vmcnt(0) lgkmcnt(0)
	s_waitcnt_vscnt null, 0x0
	buffer_gl1_inv
	buffer_gl0_inv
	v_cmpx_eq_u32_e32 0, v9
	s_cbranch_execz .LBB2_800
; %bb.799:                              ;   in Loop: Header=BB2_748 Depth=3
	s_bcnt1_i32_b32 s22, s22
	v_mov_b32_e32 v10, v2
	v_mov_b32_e32 v9, s22
	ds_add_u64 v0, v[9:10]
	s_trap 2
.LBB2_800:                              ;   in Loop: Header=BB2_748 Depth=3
	s_or_b32 exec_lo, exec_lo, s19
	s_trap 2
	ds_read_b64 v[9:10], v0
	s_waitcnt lgkmcnt(0)
	buffer_gl0_inv
	v_add_co_u32 v12, vcc_lo, v12, v81
	v_add_co_ci_u32_e64 v13, null, 0, v13, vcc_lo
	s_mov_b32 s19, exec_lo
	v_cmpx_lt_u64_e64 v[9:10], v[12:13]
	s_cbranch_execz .LBB2_809
; %bb.801:                              ;   in Loop: Header=BB2_748 Depth=3
	s_mov_b32 s22, 0
	s_mov_b32 s74, 0
                                        ; implicit-def: $sgpr23
                                        ; implicit-def: $sgpr73
	s_inst_prefetch 0x1
	s_branch .LBB2_803
	.p2align	6
.LBB2_802:                              ;   in Loop: Header=BB2_803 Depth=4
	s_or_b32 exec_lo, exec_lo, s76
	s_and_b32 s75, exec_lo, s77
	s_or_b32 s22, s75, s22
	s_andn2_b32 s23, s23, exec_lo
	s_and_b32 s75, s73, exec_lo
	s_or_b32 s23, s23, s75
	s_andn2_b32 exec_lo, exec_lo, s22
	s_cbranch_execz .LBB2_807
.LBB2_803:                              ;   Parent Loop BB2_47 Depth=1
                                        ;     Parent Loop BB2_745 Depth=2
                                        ;       Parent Loop BB2_748 Depth=3
                                        ; =>      This Inner Loop Header: Depth=4
	s_add_i32 s74, s74, 1
	s_cmpk_lg_i32 s74, 0x2710
	s_cselect_b32 s75, -1, 0
	s_and_b32 vcc_lo, exec_lo, s75
	s_cbranch_vccz .LBB2_805
; %bb.804:                              ;   in Loop: Header=BB2_803 Depth=4
	s_mov_b32 s77, -1
	s_or_b32 s73, s73, exec_lo
	s_and_saveexec_b32 s76, s75
	s_cbranch_execz .LBB2_802
	s_branch .LBB2_806
	.p2align	6
.LBB2_805:                              ;   in Loop: Header=BB2_803 Depth=4
	s_trap 2
	ds_read_b64 v[9:10], v0
	s_andn2_b32 s75, s75, exec_lo
	s_mov_b32 s74, 0
	s_waitcnt lgkmcnt(0)
	flat_load_dword v9, v[9:10] glc dlc
	s_waitcnt vmcnt(0) lgkmcnt(0)
	buffer_gl1_inv
	buffer_gl0_inv
	v_cmp_eq_u32_e32 vcc_lo, 0, v9
	s_and_b32 s76, vcc_lo, exec_lo
	s_or_b32 s75, s75, s76
	s_mov_b32 s77, -1
	s_or_b32 s73, s73, exec_lo
	s_and_saveexec_b32 s76, s75
	s_cbranch_execz .LBB2_802
.LBB2_806:                              ;   in Loop: Header=BB2_803 Depth=4
	s_sleep 1
	s_trap 2
	ds_read_b64 v[9:10], v0
	s_waitcnt lgkmcnt(0)
	buffer_gl0_inv
	s_andn2_b32 s73, s73, exec_lo
	v_cmp_ge_u64_e32 vcc_lo, v[9:10], v[12:13]
	s_orn2_b32 s77, vcc_lo, exec_lo
	s_branch .LBB2_802
.LBB2_807:                              ;   in Loop: Header=BB2_748 Depth=3
	s_inst_prefetch 0x2
	s_or_b32 exec_lo, exec_lo, s22
	s_and_saveexec_b32 s22, s23
	s_xor_b32 s22, exec_lo, s22
	s_cbranch_execz .LBB2_809
; %bb.808:                              ;   in Loop: Header=BB2_748 Depth=3
	ds_write_b32 v0, v86
	s_trap 2
.LBB2_809:                              ;   in Loop: Header=BB2_748 Depth=3
	s_or_b32 exec_lo, exec_lo, s19
	;;#ASMSTART
	s_wakeup
	;;#ASMEND
.LBB2_810:                              ;   in Loop: Header=BB2_748 Depth=3
	s_or_b32 exec_lo, exec_lo, s18
.LBB2_811:                              ;   in Loop: Header=BB2_748 Depth=3
	s_andn2_saveexec_b32 s17, s17
	s_cbranch_execz .LBB2_813
; %bb.812:                              ;   in Loop: Header=BB2_748 Depth=3
	s_waitcnt vmcnt(0) lgkmcnt(0)
	s_waitcnt_vscnt null, 0x0
	buffer_gl1_inv
	buffer_gl0_inv
	s_barrier
.LBB2_813:                              ;   in Loop: Header=BB2_748 Depth=3
	s_or_b32 exec_lo, exec_lo, s17
.LBB2_814:                              ;   in Loop: Header=BB2_748 Depth=3
	s_or_b32 exec_lo, exec_lo, s16
	s_trap 2
	ds_read_b64 v[51:52], v0
	s_waitcnt lgkmcnt(0)
	v_cmp_eq_u64_e32 vcc_lo, 0, v[51:52]
	s_cbranch_vccnz .LBB2_823
; %bb.815:                              ;   in Loop: Header=BB2_748 Depth=3
	s_trap 2
	ds_read_b64 v[53:54], v0
	s_waitcnt lgkmcnt(0)
	v_cmp_eq_u64_e32 vcc_lo, 0, v[53:54]
	s_cbranch_vccnz .LBB2_823
; %bb.816:                              ;   in Loop: Header=BB2_748 Depth=3
	s_trap 2
	ds_read_b64 v[64:65], v0
	v_cmp_eq_u32_e64 s16, 0, v8
	v_cndmask_b32_e64 v118, 0, v50, s16
	s_mov_b32 s16, -1
	s_waitcnt lgkmcnt(0)
	v_cmp_ne_u64_e32 vcc_lo, 0, v[64:65]
	s_cbranch_vccz .LBB2_850
; %bb.817:                              ;   in Loop: Header=BB2_748 Depth=3
	s_and_saveexec_b32 s17, s13
	s_cbranch_execz .LBB2_819
; %bb.818:                              ;   in Loop: Header=BB2_748 Depth=3
	ds_read_b32 v8, v0 offset:720
	s_waitcnt lgkmcnt(0)
	v_and_b32_e32 v8, 15, v8
	v_cmp_eq_u32_e32 vcc_lo, 0, v8
	s_orn2_b32 s16, vcc_lo, exec_lo
.LBB2_819:                              ;   in Loop: Header=BB2_748 Depth=3
	s_or_b32 exec_lo, exec_lo, s17
	s_and_saveexec_b32 s17, s14
	s_cbranch_execz .LBB2_821
; %bb.820:                              ;   in Loop: Header=BB2_748 Depth=3
	ds_read_b32 v8, v0 offset:784
	s_waitcnt lgkmcnt(0)
	v_and_b32_e32 v8, 15, v8
	v_cmp_eq_u32_e32 vcc_lo, 0, v8
	s_and_b32 s18, s16, vcc_lo
	s_andn2_b32 s16, s16, exec_lo
	s_and_b32 s18, s18, exec_lo
	s_or_b32 s16, s16, s18
.LBB2_821:                              ;   in Loop: Header=BB2_748 Depth=3
	s_or_b32 exec_lo, exec_lo, s17
	s_xor_b32 s16, s16, -1
	v_mov_b32_e32 v66, 0
	v_cndmask_b32_e64 v8, 0, 1, s16
	v_mov_b32_e32 v67, v118
	v_mov_b32_e32 v119, v0
	s_mov_b32 s17, -1
	v_cmp_ne_u32_e32 vcc_lo, 0, v8
	s_cbranch_vccz .LBB2_824
; %bb.822:                              ;   in Loop: Header=BB2_748 Depth=3
	s_and_saveexec_b32 s22, s17
	s_cbranch_execnz .LBB2_839
	s_branch .LBB2_849
.LBB2_823:                              ;   in Loop: Header=BB2_748 Depth=3
	s_mov_b32 s16, 0
	s_and_saveexec_b32 s17, s6
	s_cbranch_execnz .LBB2_878
	s_branch .LBB2_896
.LBB2_824:                              ;   in Loop: Header=BB2_748 Depth=3
	v_ashrrev_i32_e32 v8, 31, v118
	v_sub_nc_u32_e32 v119, v118, v85
	s_mov_b32 s19, exec_lo
	v_lshrrev_b32_e32 v8, 23, v8
	v_add_nc_u32_e32 v8, v118, v8
	v_and_b32_e32 v40, 0xfffffe00, v8
	v_ashrrev_i32_e32 v8, 9, v8
	v_sub_nc_u32_e32 v42, v118, v40
	v_sub_nc_u32_e32 v8, v8, v83
	v_cmp_lt_i32_e64 s16, 15, v42
	v_add_co_ci_u32_e64 v43, null, 0, v8, s16
	v_cmpx_lt_i32_e32 15, v119
	s_cbranch_execz .LBB2_830
; %bb.825:                              ;   in Loop: Header=BB2_748 Depth=3
	v_add_co_u32 v66, vcc_lo, v51, v85
	v_add_co_ci_u32_e64 v67, null, 0, v52, vcc_lo
	v_add_co_u32 v41, vcc_lo, v53, v85
	v_add_co_ci_u32_e64 v44, null, 0, v54, vcc_lo
	v_add_co_u32 v45, vcc_lo, v64, v85
	v_add_co_ci_u32_e64 v46, null, 0, v65, vcc_lo
	s_mov_b32 s73, 0
	s_inst_prefetch 0x1
	.p2align	6
.LBB2_826:                              ;   Parent Loop BB2_47 Depth=1
                                        ;     Parent Loop BB2_745 Depth=2
                                        ;       Parent Loop BB2_748 Depth=3
                                        ; =>      This Loop Header: Depth=4
                                        ;           Child Loop BB2_827 Depth 5
	global_load_dwordx4 v[8:11], v[66:67], off slc
	s_mov_b64 s[22:23], 0
	s_mov_b32 s74, -1
	.p2align	6
.LBB2_827:                              ;   Parent Loop BB2_47 Depth=1
                                        ;     Parent Loop BB2_745 Depth=2
                                        ;       Parent Loop BB2_748 Depth=3
                                        ;         Parent Loop BB2_826 Depth=4
                                        ; =>        This Inner Loop Header: Depth=5
	s_cmp_eq_u32 s22, 1
	s_cselect_b32 vcc_lo, -1, 0
	s_cmp_eq_u32 s22, 0
	v_cndmask_b32_e32 v56, v41, v45, vcc_lo
	v_cndmask_b32_e32 v57, v44, v46, vcc_lo
	s_mov_b64 s[22:23], 1
	v_add_co_u32 v47, s17, 0x200, v56
	v_add_co_ci_u32_e64 v58, null, 0, v57, s17
	s_cselect_b32 s17, -1, 0
	v_cndmask_b32_e32 v45, v45, v47, vcc_lo
	v_cndmask_b32_e64 v41, v41, v47, s17
	v_cndmask_b32_e32 v46, v46, v58, vcc_lo
	v_cndmask_b32_e64 v44, v44, v58, s17
	s_and_b32 s18, exec_lo, s74
	s_mov_b32 s74, 0
	s_mov_b32 vcc_lo, s18
	s_waitcnt vmcnt(0)
	global_store_dwordx4 v[56:57], v[8:11], off glc slc
	s_cbranch_vccnz .LBB2_827
; %bb.828:                              ;   in Loop: Header=BB2_826 Depth=4
	v_sub_nc_u32_e32 v119, v119, v98
	v_add_co_u32 v41, vcc_lo, v41, v101
	v_add_co_ci_u32_e64 v44, null, v44, v103, vcc_lo
	v_add_co_u32 v45, vcc_lo, v45, v101
	v_add_co_ci_u32_e64 v46, null, v46, v103, vcc_lo
	v_cmp_gt_i32_e32 vcc_lo, 16, v119
	v_add_co_u32 v66, s17, v114, v66
	v_add_co_ci_u32_e64 v67, null, v115, v67, s17
	v_sub_nc_u32_e32 v43, v43, v81
	s_or_b32 s73, vcc_lo, s73
	s_andn2_b32 exec_lo, exec_lo, s73
	s_cbranch_execnz .LBB2_826
; %bb.829:                              ;   in Loop: Header=BB2_748 Depth=3
	s_inst_prefetch 0x2
	s_or_b32 exec_lo, exec_lo, s73
.LBB2_830:                              ;   in Loop: Header=BB2_748 Depth=3
	s_or_b32 exec_lo, exec_lo, s19
	v_and_b32_e32 v8, 15, v118
	v_mov_b32_e32 v66, 0
	s_mov_b32 s17, 0
	s_mov_b32 s19, exec_lo
                                        ; implicit-def: $vgpr67
                                        ; implicit-def: $vgpr119
	v_cndmask_b32_e64 v41, v42, v8, s16
	v_cmpx_ne_u32_e32 0, v41
	s_cbranch_execz .LBB2_838
; %bb.831:                              ;   in Loop: Header=BB2_748 Depth=3
	v_cmp_lt_i32_e32 vcc_lo, 0, v43
	v_ashrrev_i32_e32 v11, 31, v41
	s_mov_b32 s73, exec_lo
	v_cndmask_b32_e32 v9, 0, v81, vcc_lo
	v_lshrrev_b32_e32 v11, 23, v11
	v_sub_nc_u32_e32 v9, v9, v43
	v_add_nc_u32_e32 v11, v41, v11
	v_lshl_or_b32 v9, v9, 5, v82
	v_and_b32_e32 v43, 0xfffffe00, v11
	v_ashrrev_i32_e32 v11, 9, v11
	v_ashrrev_i32_e32 v10, 31, v9
	v_lshrrev_b32_e32 v10, 27, v10
	v_add_nc_u32_e32 v10, v9, v10
	v_and_b32_e32 v66, 0xffffffe0, v10
	v_sub_nc_u32_e32 v119, v9, v66
	v_ashrrev_i32_e32 v9, 5, v10
	v_sub_nc_u32_e32 v66, v42, v8
	v_sub_nc_u32_e32 v42, v41, v43
	v_lshlrev_b32_e32 v10, 4, v119
	v_lshl_add_u32 v8, v9, 9, v10
	v_cndmask_b32_e64 v10, 0, v66, s16
	v_cmp_lt_i32_e64 s16, 15, v42
	v_sub_nc_u32_e32 v45, v41, v8
	v_add_nc_u32_e32 v40, v10, v40
	v_add_co_ci_u32_e64 v11, null, 0, v11, s16
	v_sub_nc_u32_e32 v44, v11, v9
	v_cmpx_lt_i32_e32 15, v45
	s_cbranch_execz .LBB2_837
; %bb.832:                              ;   in Loop: Header=BB2_748 Depth=3
	v_add_nc_u32_e32 v8, v8, v40
	s_mov_b32 s74, 0
	v_ashrrev_i32_e32 v9, 31, v8
	v_add_co_u32 v66, vcc_lo, v8, v51
	v_add_co_ci_u32_e64 v67, null, v9, v52, vcc_lo
	v_add_co_u32 v46, vcc_lo, v8, v53
	v_add_co_ci_u32_e64 v47, null, v9, v54, vcc_lo
	;; [unrolled: 2-line block ×3, first 2 shown]
	s_inst_prefetch 0x1
	.p2align	6
.LBB2_833:                              ;   Parent Loop BB2_47 Depth=1
                                        ;     Parent Loop BB2_745 Depth=2
                                        ;       Parent Loop BB2_748 Depth=3
                                        ; =>      This Loop Header: Depth=4
                                        ;           Child Loop BB2_834 Depth 5
	global_load_dwordx4 v[8:11], v[66:67], off slc
	s_mov_b64 s[22:23], 0
	s_mov_b32 s75, -1
	.p2align	6
.LBB2_834:                              ;   Parent Loop BB2_47 Depth=1
                                        ;     Parent Loop BB2_745 Depth=2
                                        ;       Parent Loop BB2_748 Depth=3
                                        ;         Parent Loop BB2_833 Depth=4
                                        ; =>        This Inner Loop Header: Depth=5
	s_cmp_eq_u32 s22, 1
	s_cselect_b32 vcc_lo, -1, 0
	s_cmp_eq_u32 s22, 0
	v_cndmask_b32_e32 v58, v46, v56, vcc_lo
	v_cndmask_b32_e32 v59, v47, v57, vcc_lo
	s_mov_b64 s[22:23], 1
	v_add_co_u32 v60, s17, 0x200, v58
	v_add_co_ci_u32_e64 v61, null, 0, v59, s17
	s_cselect_b32 s17, -1, 0
	v_cndmask_b32_e32 v56, v56, v60, vcc_lo
	v_cndmask_b32_e64 v46, v46, v60, s17
	v_cndmask_b32_e32 v57, v57, v61, vcc_lo
	v_cndmask_b32_e64 v47, v47, v61, s17
	s_and_b32 s18, exec_lo, s75
	s_mov_b32 s75, 0
	s_mov_b32 vcc_lo, s18
	s_waitcnt vmcnt(0)
	global_store_dwordx4 v[58:59], v[8:11], off glc slc
	s_cbranch_vccnz .LBB2_834
; %bb.835:                              ;   in Loop: Header=BB2_833 Depth=4
	v_sub_nc_u32_e32 v45, v45, v98
	v_add_co_u32 v46, vcc_lo, v46, v101
	v_add_co_ci_u32_e64 v47, null, v47, v103, vcc_lo
	v_add_co_u32 v56, vcc_lo, v56, v101
	v_add_co_ci_u32_e64 v57, null, v57, v103, vcc_lo
	v_cmp_gt_i32_e32 vcc_lo, 16, v45
	v_add_co_u32 v66, s17, v114, v66
	v_add_co_ci_u32_e64 v67, null, v115, v67, s17
	v_sub_nc_u32_e32 v44, v44, v81
	s_or_b32 s74, vcc_lo, s74
	s_andn2_b32 exec_lo, exec_lo, s74
	s_cbranch_execnz .LBB2_833
; %bb.836:                              ;   in Loop: Header=BB2_748 Depth=3
	s_inst_prefetch 0x2
	s_or_b32 exec_lo, exec_lo, s74
.LBB2_837:                              ;   in Loop: Header=BB2_748 Depth=3
	s_or_b32 exec_lo, exec_lo, s73
	v_and_b32_e32 v8, 15, v41
	v_cmp_lt_i32_e32 vcc_lo, 0, v44
	v_sub_nc_u32_e32 v9, v42, v8
	v_cndmask_b32_e32 v10, 0, v81, vcc_lo
	v_cndmask_b32_e64 v67, v42, v8, s16
	v_cndmask_b32_e64 v8, 0, v9, s16
	v_sub_nc_u32_e32 v9, v10, v44
	v_cmp_ne_u32_e32 vcc_lo, 0, v67
	v_add3_u32 v66, v43, v40, v8
	v_lshl_add_u32 v119, v9, 5, v119
	s_and_b32 s17, vcc_lo, exec_lo
.LBB2_838:                              ;   in Loop: Header=BB2_748 Depth=3
	s_or_b32 exec_lo, exec_lo, s19
	s_and_saveexec_b32 s22, s17
	s_cbranch_execz .LBB2_849
.LBB2_839:                              ;   in Loop: Header=BB2_748 Depth=3
	v_ashrrev_i32_e32 v8, 31, v119
	v_ashrrev_i32_e32 v9, 31, v67
	s_mov_b32 s17, exec_lo
	v_lshrrev_b32_e32 v8, 27, v8
	v_add_nc_u32_sdwa v9, v67, v9 dst_sel:DWORD dst_unused:UNUSED_PAD src0_sel:DWORD src1_sel:BYTE_3
	v_add_nc_u32_e32 v8, v119, v8
	v_ashrrev_i32_e32 v42, 8, v9
	v_ashrrev_i32_e32 v40, 5, v8
	v_sub_nc_u32_e32 v41, v42, v40
	v_cmpx_lt_i32_e32 0, v41
	s_cbranch_execz .LBB2_843
; %bb.840:                              ;   in Loop: Header=BB2_748 Depth=3
	v_and_b32_e32 v8, 0xffffffe0, v8
	v_lshlrev_b32_e32 v9, 8, v40
	v_add_co_u32 v45, vcc_lo, 0xe0, v51
	v_add_co_ci_u32_e64 v46, null, 0, v52, vcc_lo
	v_sub_nc_u32_e32 v8, v119, v8
	s_mov_b32 s18, 0
	v_add3_u32 v43, v66, v8, v9
	v_ashrrev_i32_e32 v44, 31, v43
	v_add_co_u32 v8, vcc_lo, v43, v53
	v_add_co_ci_u32_e64 v9, null, v44, v54, vcc_lo
	v_add_co_u32 v10, vcc_lo, v43, v64
	v_add_co_ci_u32_e64 v11, null, v44, v65, vcc_lo
	v_add_co_u32 v64, vcc_lo, v45, v43
	v_add_co_ci_u32_e64 v65, null, v46, v44, vcc_lo
.LBB2_841:                              ;   Parent Loop BB2_47 Depth=1
                                        ;     Parent Loop BB2_745 Depth=2
                                        ;       Parent Loop BB2_748 Depth=3
                                        ; =>      This Inner Loop Header: Depth=4
	v_add_co_u32 v43, vcc_lo, 0xffffff20, v64
	v_add_co_ci_u32_e64 v44, null, -1, v65, vcc_lo
	v_add_co_u32 v45, vcc_lo, 0xffffff40, v64
	v_add_co_ci_u32_e64 v46, null, -1, v65, vcc_lo
	;; [unrolled: 2-line block ×7, first 2 shown]
	flat_load_ubyte v47, v[64:65] slc
	flat_load_ubyte v43, v[43:44] slc
	;; [unrolled: 1-line block ×8, first 2 shown]
	v_sub_nc_u32_e32 v41, v41, v81
	v_add_co_u32 v64, vcc_lo, v64, v99
	v_add_co_ci_u32_e64 v65, null, 0, v65, vcc_lo
	v_cmp_gt_i32_e32 vcc_lo, 1, v41
	s_waitcnt vmcnt(7) lgkmcnt(7)
	flat_store_byte v[8:9], v47 offset:224 glc slc
	s_waitcnt vmcnt(6) lgkmcnt(7)
	flat_store_byte v[8:9], v43 glc slc
	s_waitcnt vmcnt(5) lgkmcnt(7)
	flat_store_byte v[8:9], v44 offset:32 glc slc
	s_waitcnt vmcnt(4) lgkmcnt(7)
	flat_store_byte v[8:9], v45 offset:64 glc slc
	s_waitcnt vmcnt(3) lgkmcnt(7)
	flat_store_byte v[8:9], v46 offset:96 glc slc
	s_waitcnt vmcnt(2) lgkmcnt(7)
	flat_store_byte v[8:9], v56 offset:128 glc slc
	s_waitcnt vmcnt(1) lgkmcnt(7)
	flat_store_byte v[8:9], v57 offset:160 glc slc
	s_waitcnt vmcnt(0) lgkmcnt(7)
	flat_store_byte v[8:9], v58 offset:192 glc slc
	flat_store_byte v[10:11], v43 glc slc
	flat_store_byte v[10:11], v44 offset:32 glc slc
	flat_store_byte v[10:11], v45 offset:64 glc slc
	;; [unrolled: 1-line block ×7, first 2 shown]
	v_add_co_u32 v8, s16, v8, v99
	v_add_co_ci_u32_e64 v9, null, 0, v9, s16
	v_add_co_u32 v10, s16, v10, v99
	v_add_co_ci_u32_e64 v11, null, 0, v11, s16
	s_or_b32 s18, vcc_lo, s18
	s_andn2_b32 exec_lo, exec_lo, s18
	s_cbranch_execnz .LBB2_841
; %bb.842:                              ;   in Loop: Header=BB2_748 Depth=3
	s_or_b32 exec_lo, exec_lo, s18
.LBB2_843:                              ;   in Loop: Header=BB2_748 Depth=3
	s_or_b32 exec_lo, exec_lo, s17
	v_lshlrev_b32_e32 v8, 8, v42
	v_cmp_ne_u32_e32 vcc_lo, v67, v8
	s_and_b32 exec_lo, exec_lo, vcc_lo
	s_cbranch_execz .LBB2_849
; %bb.844:                              ;   in Loop: Header=BB2_748 Depth=3
	v_lshlrev_b32_e32 v9, 5, v40
	v_lshlrev_b32_e32 v10, 5, v41
	v_sub_nc_u32_e32 v9, v119, v9
	v_sub_nc_u32_e32 v9, v9, v10
	v_add_nc_u32_e32 v8, v8, v9
	v_sub_nc_u32_e32 v10, v67, v8
	v_cmp_lt_i32_e32 vcc_lo, 0, v10
	s_and_b32 exec_lo, exec_lo, vcc_lo
	s_cbranch_execz .LBB2_849
; %bb.845:                              ;   in Loop: Header=BB2_748 Depth=3
	s_trap 2
	ds_read_b64 v[64:65], v0
	ds_read_b128 v[40:43], v0
	v_add_nc_u32_e32 v66, v8, v66
	s_mov_b32 s23, 0
	v_ashrrev_i32_e32 v67, 31, v66
	s_waitcnt lgkmcnt(1)
	v_add_co_u32 v8, vcc_lo, v64, v66
	v_add_co_ci_u32_e64 v9, null, v65, v67, vcc_lo
	s_waitcnt lgkmcnt(0)
	v_add_co_u32 v11, vcc_lo, v40, v66
	v_add_co_ci_u32_e64 v64, null, v41, v67, vcc_lo
	v_add_co_u32 v65, vcc_lo, v42, v66
	v_add_co_ci_u32_e64 v66, null, v43, v67, vcc_lo
	s_inst_prefetch 0x1
	.p2align	6
.LBB2_846:                              ;   Parent Loop BB2_47 Depth=1
                                        ;     Parent Loop BB2_745 Depth=2
                                        ;       Parent Loop BB2_748 Depth=3
                                        ; =>      This Loop Header: Depth=4
                                        ;           Child Loop BB2_847 Depth 5
	flat_load_ubyte v67, v[8:9] slc
	s_mov_b64 s[18:19], 0
	s_mov_b32 s73, -1
	.p2align	6
.LBB2_847:                              ;   Parent Loop BB2_47 Depth=1
                                        ;     Parent Loop BB2_745 Depth=2
                                        ;       Parent Loop BB2_748 Depth=3
                                        ;         Parent Loop BB2_846 Depth=4
                                        ; =>        This Inner Loop Header: Depth=5
	s_cmp_eq_u32 s18, 1
	s_cselect_b32 vcc_lo, -1, 0
	s_cmp_eq_u32 s18, 0
	v_cndmask_b32_e32 v40, v11, v65, vcc_lo
	v_cndmask_b32_e32 v41, v64, v66, vcc_lo
	s_mov_b64 s[18:19], 1
	v_add_co_u32 v119, s16, v40, 32
	v_add_co_ci_u32_e64 v42, null, 0, v41, s16
	s_cselect_b32 s16, -1, 0
	v_cndmask_b32_e32 v65, v65, v119, vcc_lo
	v_cndmask_b32_e64 v11, v11, v119, s16
	v_cndmask_b32_e32 v66, v66, v42, vcc_lo
	v_cndmask_b32_e64 v64, v64, v42, s16
	s_and_b32 s17, exec_lo, s73
	s_mov_b32 s73, 0
	s_mov_b32 vcc_lo, s17
	s_waitcnt vmcnt(0) lgkmcnt(0)
	flat_store_byte v[40:41], v67 glc slc
	s_cbranch_vccnz .LBB2_847
; %bb.848:                              ;   in Loop: Header=BB2_846 Depth=4
	v_sub_nc_u32_e32 v10, v10, v84
	v_add_co_u32 v11, vcc_lo, v11, v100
	v_add_co_ci_u32_e64 v64, null, v64, v102, vcc_lo
	v_add_co_u32 v65, vcc_lo, v65, v100
	v_add_co_ci_u32_e64 v66, null, v66, v102, vcc_lo
	v_cmp_gt_i32_e32 vcc_lo, 1, v10
	v_add_co_u32 v8, s16, v112, v8
	v_add_co_ci_u32_e64 v9, null, v113, v9, s16
	s_or_b32 s23, vcc_lo, s23
	s_andn2_b32 exec_lo, exec_lo, s23
	s_cbranch_execnz .LBB2_846
.LBB2_849:                              ;   in Loop: Header=BB2_748 Depth=3
	s_inst_prefetch 0x2
	s_or_b32 exec_lo, exec_lo, s22
	s_mov_b32 s16, 0
.LBB2_850:                              ;   in Loop: Header=BB2_748 Depth=3
	s_and_b32 vcc_lo, exec_lo, s16
	s_cbranch_vccz .LBB2_877
; %bb.851:                              ;   in Loop: Header=BB2_748 Depth=3
	s_mov_b32 s16, -1
	s_and_saveexec_b32 s17, s13
	s_cbranch_execz .LBB2_853
; %bb.852:                              ;   in Loop: Header=BB2_748 Depth=3
	ds_read_b32 v8, v0 offset:720
	s_waitcnt lgkmcnt(0)
	v_and_b32_e32 v8, 15, v8
	v_cmp_eq_u32_e32 vcc_lo, 0, v8
	s_orn2_b32 s16, vcc_lo, exec_lo
.LBB2_853:                              ;   in Loop: Header=BB2_748 Depth=3
	s_or_b32 exec_lo, exec_lo, s17
	s_and_saveexec_b32 s17, s12
	s_cbranch_execz .LBB2_855
; %bb.854:                              ;   in Loop: Header=BB2_748 Depth=3
	ds_read_b32 v8, v0 offset:784
	s_waitcnt lgkmcnt(0)
	v_and_b32_e32 v8, 15, v8
	v_cmp_eq_u32_e32 vcc_lo, 0, v8
	s_and_b32 s18, s16, vcc_lo
	s_andn2_b32 s16, s16, exec_lo
	s_and_b32 s18, s18, exec_lo
	s_or_b32 s16, s16, s18
.LBB2_855:                              ;   in Loop: Header=BB2_748 Depth=3
	s_or_b32 exec_lo, exec_lo, s17
	s_xor_b32 s16, s16, -1
	v_mov_b32_e32 v10, 0
	v_cndmask_b32_e64 v8, 0, 1, s16
	v_mov_b32_e32 v9, v0
	s_mov_b32 s16, -1
	v_cmp_ne_u32_e32 vcc_lo, 0, v8
	v_mov_b32_e32 v8, v118
	s_cbranch_vccz .LBB2_857
; %bb.856:                              ;   in Loop: Header=BB2_748 Depth=3
	s_and_saveexec_b32 s17, s16
	s_cbranch_execnz .LBB2_868
	s_branch .LBB2_876
.LBB2_857:                              ;   in Loop: Header=BB2_748 Depth=3
	v_ashrrev_i32_e32 v8, 31, v118
	s_mov_b32 s17, exec_lo
	v_lshrrev_b32_e32 v8, 22, v8
	v_add_nc_u32_e32 v8, v118, v8
	v_ashrrev_i32_e32 v10, 10, v8
	v_sub_nc_u32_e32 v64, v10, v83
	v_cmpx_lt_i32_e32 0, v64
	s_cbranch_execz .LBB2_861
; %bb.858:                              ;   in Loop: Header=BB2_748 Depth=3
	v_mov_b32_e32 v8, v34
	v_mov_b32_e32 v9, v35
	s_mov_b32 s18, 0
	.p2align	6
.LBB2_859:                              ;   Parent Loop BB2_47 Depth=1
                                        ;     Parent Loop BB2_745 Depth=2
                                        ;       Parent Loop BB2_748 Depth=3
                                        ; =>      This Inner Loop Header: Depth=4
	v_add_co_u32 v65, vcc_lo, v51, v8
	v_add_co_ci_u32_e64 v66, null, v52, v9, vcc_lo
	v_sub_nc_u32_e32 v64, v64, v81
	s_clause 0x1
	global_load_dwordx4 v[40:43], v[65:66], off slc
	global_load_dwordx4 v[44:47], v[65:66], off offset:512 slc
	v_add_co_u32 v65, vcc_lo, v53, v8
	v_add_co_ci_u32_e64 v66, null, v54, v9, vcc_lo
	v_cmp_gt_i32_e32 vcc_lo, 1, v64
	v_add_co_u32 v8, s16, v8, v97
	v_add_co_ci_u32_e64 v9, null, 0, v9, s16
	s_or_b32 s18, vcc_lo, s18
	s_waitcnt vmcnt(1)
	global_store_dwordx4 v[65:66], v[40:43], off glc slc
	s_waitcnt vmcnt(0)
	global_store_dwordx4 v[65:66], v[44:47], off offset:512 glc slc
	s_andn2_b32 exec_lo, exec_lo, s18
	s_cbranch_execnz .LBB2_859
; %bb.860:                              ;   in Loop: Header=BB2_748 Depth=3
	s_or_b32 exec_lo, exec_lo, s18
.LBB2_861:                              ;   in Loop: Header=BB2_748 Depth=3
	s_or_b32 exec_lo, exec_lo, s17
	v_lshlrev_b32_e32 v11, 10, v10
	v_mov_b32_e32 v10, 0
	s_mov_b32 s16, 0
	s_mov_b32 s18, exec_lo
                                        ; implicit-def: $vgpr8
                                        ; implicit-def: $vgpr9
	v_cmpx_ne_u32_e64 v118, v11
	s_cbranch_execz .LBB2_867
; %bb.862:                              ;   in Loop: Header=BB2_748 Depth=3
	v_lshlrev_b32_e32 v8, 5, v64
	v_sub_nc_u32_e32 v64, v118, v11
	s_mov_b32 s19, exec_lo
	v_sub_nc_u32_e32 v8, v82, v8
	v_ashrrev_i32_e32 v10, 31, v64
	v_ashrrev_i32_e32 v9, 31, v8
	v_lshrrev_b32_e32 v9, 27, v9
	v_add_nc_u32_e32 v65, v8, v9
	v_lshrrev_b32_e32 v9, 23, v10
	v_and_b32_e32 v10, 0xffffffe0, v65
	v_add_nc_u32_e32 v66, v64, v9
	v_ashrrev_i32_e32 v67, 5, v65
	v_sub_nc_u32_e32 v9, v8, v10
	v_and_b32_e32 v10, 0xfffffe00, v66
	v_ashrrev_i32_e32 v119, 9, v66
	v_lshlrev_b32_e32 v65, 4, v9
	v_sub_nc_u32_e32 v8, v64, v10
	v_lshl_add_u32 v66, v67, 9, v65
	v_cmp_lt_i32_e32 vcc_lo, 15, v8
	v_sub_nc_u32_e32 v65, v64, v66
	v_add_co_ci_u32_e64 v119, null, 0, v119, vcc_lo
	v_sub_nc_u32_e32 v64, v119, v67
	v_cmpx_lt_i32_e32 15, v65
	s_cbranch_execz .LBB2_866
; %bb.863:                              ;   in Loop: Header=BB2_748 Depth=3
	v_add_nc_u32_e32 v66, v66, v11
	s_mov_b32 s22, 0
	v_ashrrev_i32_e32 v67, 31, v66
	.p2align	6
.LBB2_864:                              ;   Parent Loop BB2_47 Depth=1
                                        ;     Parent Loop BB2_745 Depth=2
                                        ;       Parent Loop BB2_748 Depth=3
                                        ; =>      This Inner Loop Header: Depth=4
	v_add_co_u32 v40, s16, v51, v66
	v_add_co_ci_u32_e64 v41, null, v52, v67, s16
	v_sub_nc_u32_e32 v65, v65, v98
	v_add_co_u32 v44, s16, v53, v66
	global_load_dwordx4 v[40:43], v[40:41], off slc
	v_add_co_ci_u32_e64 v45, null, v54, v67, s16
	v_cmp_gt_i32_e64 s16, 16, v65
	v_add_co_u32 v66, s17, v66, v98
	v_sub_nc_u32_e32 v64, v64, v81
	v_add_co_ci_u32_e64 v67, null, 0, v67, s17
	s_or_b32 s22, s16, s22
	s_waitcnt vmcnt(0)
	global_store_dwordx4 v[44:45], v[40:43], off glc slc
	s_andn2_b32 exec_lo, exec_lo, s22
	s_cbranch_execnz .LBB2_864
; %bb.865:                              ;   in Loop: Header=BB2_748 Depth=3
	s_or_b32 exec_lo, exec_lo, s22
.LBB2_866:                              ;   in Loop: Header=BB2_748 Depth=3
	s_or_b32 exec_lo, exec_lo, s19
	v_and_b32_e32 v65, 15, v118
	v_cmp_lt_i32_e64 s16, 0, v64
	v_sub_nc_u32_e32 v66, v8, v65
	v_cndmask_b32_e64 v67, 0, v81, s16
	v_cndmask_b32_e32 v8, v8, v65, vcc_lo
	v_cndmask_b32_e32 v65, 0, v66, vcc_lo
	v_sub_nc_u32_e32 v64, v67, v64
	v_cmp_ne_u32_e32 vcc_lo, 0, v8
	v_add3_u32 v10, v10, v11, v65
	v_lshl_add_u32 v9, v64, 5, v9
	s_and_b32 s16, vcc_lo, exec_lo
.LBB2_867:                              ;   in Loop: Header=BB2_748 Depth=3
	s_or_b32 exec_lo, exec_lo, s18
	s_and_saveexec_b32 s17, s16
	s_cbranch_execz .LBB2_876
.LBB2_868:                              ;   in Loop: Header=BB2_748 Depth=3
	v_ashrrev_i32_e32 v11, 31, v9
	v_ashrrev_i32_e32 v64, 31, v8
	s_mov_b32 s16, exec_lo
	v_lshrrev_b32_e32 v11, 27, v11
	v_add_nc_u32_sdwa v64, v8, v64 dst_sel:DWORD dst_unused:UNUSED_PAD src0_sel:DWORD src1_sel:BYTE_3
	v_add_nc_u32_e32 v66, v9, v11
	v_ashrrev_i32_e32 v65, 8, v64
	v_ashrrev_i32_e32 v11, 5, v66
	v_sub_nc_u32_e32 v64, v65, v11
	v_cmpx_lt_i32_e32 0, v64
	s_cbranch_execz .LBB2_872
; %bb.869:                              ;   in Loop: Header=BB2_748 Depth=3
	v_and_b32_e32 v66, 0xffffffe0, v66
	v_lshlrev_b32_e32 v67, 8, v11
	s_mov_b32 s18, 0
	v_sub_nc_u32_e32 v66, v9, v66
	v_add3_u32 v66, v10, v66, v67
	v_ashrrev_i32_e32 v67, 31, v66
.LBB2_870:                              ;   Parent Loop BB2_47 Depth=1
                                        ;     Parent Loop BB2_745 Depth=2
                                        ;       Parent Loop BB2_748 Depth=3
                                        ; =>      This Inner Loop Header: Depth=4
	v_add_co_u32 v40, vcc_lo, v66, v51
	v_add_co_ci_u32_e64 v41, null, v67, v52, vcc_lo
	v_sub_nc_u32_e32 v64, v64, v81
	s_clause 0x7
	flat_load_ubyte v119, v[40:41] slc
	flat_load_ubyte v42, v[40:41] offset:32 slc
	flat_load_ubyte v43, v[40:41] offset:64 slc
	;; [unrolled: 1-line block ×7, first 2 shown]
	v_add_co_u32 v40, vcc_lo, v66, v53
	v_add_co_ci_u32_e64 v41, null, v67, v54, vcc_lo
	v_add_co_u32 v51, vcc_lo, v51, v99
	v_add_co_ci_u32_e64 v52, null, 0, v52, vcc_lo
	;; [unrolled: 2-line block ×3, first 2 shown]
	v_cmp_gt_i32_e32 vcc_lo, 1, v64
	s_waitcnt vmcnt(7) lgkmcnt(7)
	flat_store_byte v[40:41], v119 glc slc
	s_waitcnt vmcnt(6) lgkmcnt(7)
	flat_store_byte v[40:41], v42 offset:32 glc slc
	s_waitcnt vmcnt(5) lgkmcnt(7)
	flat_store_byte v[40:41], v43 offset:64 glc slc
	;; [unrolled: 2-line block ×7, first 2 shown]
	s_or_b32 s18, vcc_lo, s18
	s_andn2_b32 exec_lo, exec_lo, s18
	s_cbranch_execnz .LBB2_870
; %bb.871:                              ;   in Loop: Header=BB2_748 Depth=3
	s_or_b32 exec_lo, exec_lo, s18
.LBB2_872:                              ;   in Loop: Header=BB2_748 Depth=3
	s_or_b32 exec_lo, exec_lo, s16
	v_lshlrev_b32_e32 v51, 8, v65
	v_cmp_ne_u32_e32 vcc_lo, v8, v51
	s_and_b32 exec_lo, exec_lo, vcc_lo
	s_cbranch_execz .LBB2_876
; %bb.873:                              ;   in Loop: Header=BB2_748 Depth=3
	v_lshlrev_b32_e32 v11, 5, v11
	v_sub_nc_u32_e32 v9, v9, v11
	v_lshlrev_b32_e32 v11, 5, v64
	v_sub_nc_u32_e32 v9, v9, v11
	v_add_nc_u32_e32 v51, v51, v9
	v_sub_nc_u32_e32 v11, v8, v51
	v_cmp_lt_i32_e32 vcc_lo, 0, v11
	s_and_b32 exec_lo, exec_lo, vcc_lo
	s_cbranch_execz .LBB2_876
; %bb.874:                              ;   in Loop: Header=BB2_748 Depth=3
	s_trap 2
	ds_read_b64 v[8:9], v0
	v_add_nc_u32_e32 v10, v51, v10
	s_mov_b32 s18, 0
	v_ashrrev_i32_e32 v51, 31, v10
	.p2align	6
.LBB2_875:                              ;   Parent Loop BB2_47 Depth=1
                                        ;     Parent Loop BB2_745 Depth=2
                                        ;       Parent Loop BB2_748 Depth=3
                                        ; =>      This Inner Loop Header: Depth=4
	s_waitcnt lgkmcnt(0)
	v_add_co_u32 v52, vcc_lo, v8, v10
	v_add_co_ci_u32_e64 v53, null, v9, v51, vcc_lo
	v_sub_nc_u32_e32 v11, v11, v84
	v_add_co_u32 v10, s16, v10, v84
	flat_load_ubyte v54, v[52:53] slc
	v_add_co_ci_u32_e64 v51, null, 0, v51, s16
	v_cmp_gt_i32_e32 vcc_lo, 1, v11
	s_or_b32 s18, vcc_lo, s18
	s_waitcnt vmcnt(0) lgkmcnt(0)
	flat_store_byte v[52:53], v54 glc slc
	s_andn2_b32 exec_lo, exec_lo, s18
	s_cbranch_execnz .LBB2_875
.LBB2_876:                              ;   in Loop: Header=BB2_748 Depth=3
	s_or_b32 exec_lo, exec_lo, s17
.LBB2_877:                              ;   in Loop: Header=BB2_748 Depth=3
	v_cmp_lt_i32_e64 s16, 0, v118
	s_and_saveexec_b32 s17, s6
	s_cbranch_execz .LBB2_896
.LBB2_878:                              ;   in Loop: Header=BB2_748 Depth=3
	s_and_saveexec_b32 s18, s29
	s_xor_b32 s18, exec_lo, s18
	s_cbranch_execz .LBB2_893
; %bb.879:                              ;   in Loop: Header=BB2_748 Depth=3
	s_and_saveexec_b32 s19, s11
	s_cbranch_execz .LBB2_892
; %bb.880:                              ;   in Loop: Header=BB2_748 Depth=3
	s_mov_b32 s23, exec_lo
	s_mov_b32 s22, exec_lo
	v_mbcnt_lo_u32_b32 v8, s23, 0
	s_waitcnt vmcnt(0) lgkmcnt(0)
	s_waitcnt_vscnt null, 0x0
	buffer_gl1_inv
	buffer_gl0_inv
	v_cmpx_eq_u32_e32 0, v8
	s_cbranch_execz .LBB2_882
; %bb.881:                              ;   in Loop: Header=BB2_748 Depth=3
	s_bcnt1_i32_b32 s23, s23
	v_mov_b32_e32 v9, v2
	v_mov_b32_e32 v8, s23
	ds_add_u64 v0, v[8:9]
	s_trap 2
.LBB2_882:                              ;   in Loop: Header=BB2_748 Depth=3
	s_or_b32 exec_lo, exec_lo, s22
	s_trap 2
	ds_read_b64 v[8:9], v0
	s_waitcnt lgkmcnt(0)
	buffer_gl0_inv
	v_add_co_u32 v12, vcc_lo, v12, v81
	v_add_co_ci_u32_e64 v13, null, 0, v13, vcc_lo
	s_mov_b32 s22, exec_lo
	v_cmpx_lt_u64_e64 v[8:9], v[12:13]
	s_cbranch_execz .LBB2_891
; %bb.883:                              ;   in Loop: Header=BB2_748 Depth=3
	s_mov_b32 s23, 0
	s_mov_b32 s75, 0
                                        ; implicit-def: $sgpr73
                                        ; implicit-def: $sgpr74
	s_inst_prefetch 0x1
	s_branch .LBB2_885
	.p2align	6
.LBB2_884:                              ;   in Loop: Header=BB2_885 Depth=4
	s_or_b32 exec_lo, exec_lo, s77
	s_and_b32 s76, exec_lo, s78
	s_or_b32 s23, s76, s23
	s_andn2_b32 s73, s73, exec_lo
	s_and_b32 s76, s74, exec_lo
	s_or_b32 s73, s73, s76
	s_andn2_b32 exec_lo, exec_lo, s23
	s_cbranch_execz .LBB2_889
.LBB2_885:                              ;   Parent Loop BB2_47 Depth=1
                                        ;     Parent Loop BB2_745 Depth=2
                                        ;       Parent Loop BB2_748 Depth=3
                                        ; =>      This Inner Loop Header: Depth=4
	s_add_i32 s75, s75, 1
	s_cmpk_lg_i32 s75, 0x2710
	s_cselect_b32 s76, -1, 0
	s_and_b32 vcc_lo, exec_lo, s76
	s_cbranch_vccz .LBB2_887
; %bb.886:                              ;   in Loop: Header=BB2_885 Depth=4
	s_mov_b32 s78, -1
	s_or_b32 s74, s74, exec_lo
	s_and_saveexec_b32 s77, s76
	s_cbranch_execz .LBB2_884
	s_branch .LBB2_888
	.p2align	6
.LBB2_887:                              ;   in Loop: Header=BB2_885 Depth=4
	s_trap 2
	ds_read_b64 v[8:9], v0
	s_andn2_b32 s76, s76, exec_lo
	s_mov_b32 s75, 0
	s_waitcnt lgkmcnt(0)
	flat_load_dword v8, v[8:9] glc dlc
	s_waitcnt vmcnt(0) lgkmcnt(0)
	buffer_gl1_inv
	buffer_gl0_inv
	v_cmp_eq_u32_e32 vcc_lo, 0, v8
	s_and_b32 s77, vcc_lo, exec_lo
	s_or_b32 s76, s76, s77
	s_mov_b32 s78, -1
	s_or_b32 s74, s74, exec_lo
	s_and_saveexec_b32 s77, s76
	s_cbranch_execz .LBB2_884
.LBB2_888:                              ;   in Loop: Header=BB2_885 Depth=4
	s_sleep 1
	s_trap 2
	ds_read_b64 v[8:9], v0
	s_waitcnt lgkmcnt(0)
	buffer_gl0_inv
	s_andn2_b32 s74, s74, exec_lo
	v_cmp_ge_u64_e32 vcc_lo, v[8:9], v[12:13]
	s_orn2_b32 s78, vcc_lo, exec_lo
	s_branch .LBB2_884
.LBB2_889:                              ;   in Loop: Header=BB2_748 Depth=3
	s_inst_prefetch 0x2
	s_or_b32 exec_lo, exec_lo, s23
	s_and_saveexec_b32 s23, s73
	s_xor_b32 s23, exec_lo, s23
	s_cbranch_execz .LBB2_891
; %bb.890:                              ;   in Loop: Header=BB2_748 Depth=3
	ds_write_b32 v0, v86
	s_trap 2
.LBB2_891:                              ;   in Loop: Header=BB2_748 Depth=3
	s_or_b32 exec_lo, exec_lo, s22
	;;#ASMSTART
	s_wakeup
	;;#ASMEND
.LBB2_892:                              ;   in Loop: Header=BB2_748 Depth=3
	s_or_b32 exec_lo, exec_lo, s19
.LBB2_893:                              ;   in Loop: Header=BB2_748 Depth=3
	s_andn2_saveexec_b32 s18, s18
	s_cbranch_execz .LBB2_895
; %bb.894:                              ;   in Loop: Header=BB2_748 Depth=3
	s_waitcnt vmcnt(0) lgkmcnt(0)
	s_waitcnt_vscnt null, 0x0
	buffer_gl1_inv
	buffer_gl0_inv
	s_barrier
.LBB2_895:                              ;   in Loop: Header=BB2_748 Depth=3
	s_or_b32 exec_lo, exec_lo, s18
.LBB2_896:                              ;   in Loop: Header=BB2_748 Depth=3
	s_or_b32 exec_lo, exec_lo, s17
	v_and_b32_e32 v8, 16, v71
	s_and_saveexec_b32 s17, s15
	s_xor_b32 s17, exec_lo, s17
	s_cbranch_execz .LBB2_900
; %bb.897:                              ;   in Loop: Header=BB2_748 Depth=3
	v_and_b32_e32 v8, 16, v71
	v_cmp_ne_u32_e32 vcc_lo, 0, v8
	v_and_b32_e32 v8, 16, v71
	s_and_b32 s18, vcc_lo, s16
	s_and_saveexec_b32 s16, s18
	s_cbranch_execz .LBB2_899
; %bb.898:                              ;   in Loop: Header=BB2_748 Depth=3
	v_mov_b32_e32 v8, 1
	s_waitcnt vmcnt(0) lgkmcnt(0)
	s_waitcnt_vscnt null, 0x0
	buffer_gl1_inv
	buffer_gl0_inv
.LBB2_899:                              ;   in Loop: Header=BB2_748 Depth=3
	s_or_b32 exec_lo, exec_lo, s16
.LBB2_900:                              ;   in Loop: Header=BB2_748 Depth=3
	s_andn2_saveexec_b32 s16, s17
	s_cbranch_execz .LBB2_919
; %bb.901:                              ;   in Loop: Header=BB2_748 Depth=3
	s_and_saveexec_b32 s17, s29
	s_xor_b32 s17, exec_lo, s17
	s_cbranch_execz .LBB2_916
; %bb.902:                              ;   in Loop: Header=BB2_748 Depth=3
	s_and_saveexec_b32 s18, s11
	s_cbranch_execz .LBB2_915
; %bb.903:                              ;   in Loop: Header=BB2_748 Depth=3
	s_mov_b32 s22, exec_lo
	s_mov_b32 s19, exec_lo
	v_mbcnt_lo_u32_b32 v9, s22, 0
	;;#ASMSTART
	s_waitcnt lgkmcnt(0) vmcnt(0)
	;;#ASMEND
	v_cmpx_eq_u32_e32 0, v9
	s_cbranch_execz .LBB2_905
; %bb.904:                              ;   in Loop: Header=BB2_748 Depth=3
	s_bcnt1_i32_b32 s22, s22
	v_mov_b32_e32 v10, v2
	v_mov_b32_e32 v9, s22
	s_waitcnt vmcnt(0) lgkmcnt(0)
	s_waitcnt_vscnt null, 0x0
	ds_add_u64 v0, v[9:10]
	s_trap 2
.LBB2_905:                              ;   in Loop: Header=BB2_748 Depth=3
	s_or_b32 exec_lo, exec_lo, s19
	s_trap 2
	ds_read_b64 v[9:10], v0
	s_waitcnt vmcnt(0) lgkmcnt(0)
	buffer_gl0_inv
	v_add_co_u32 v12, vcc_lo, v12, v81
	v_add_co_ci_u32_e64 v13, null, 0, v13, vcc_lo
	s_mov_b32 s19, exec_lo
	v_cmpx_lt_u64_e64 v[9:10], v[12:13]
	s_cbranch_execz .LBB2_914
; %bb.906:                              ;   in Loop: Header=BB2_748 Depth=3
	s_mov_b32 s22, 0
	s_mov_b32 s74, 0
                                        ; implicit-def: $sgpr23
                                        ; implicit-def: $sgpr73
	s_inst_prefetch 0x1
	s_branch .LBB2_908
	.p2align	6
.LBB2_907:                              ;   in Loop: Header=BB2_908 Depth=4
	s_or_b32 exec_lo, exec_lo, s76
	s_and_b32 s75, exec_lo, s77
	s_or_b32 s22, s75, s22
	s_andn2_b32 s23, s23, exec_lo
	s_and_b32 s75, s73, exec_lo
	s_or_b32 s23, s23, s75
	s_andn2_b32 exec_lo, exec_lo, s22
	s_cbranch_execz .LBB2_912
.LBB2_908:                              ;   Parent Loop BB2_47 Depth=1
                                        ;     Parent Loop BB2_745 Depth=2
                                        ;       Parent Loop BB2_748 Depth=3
                                        ; =>      This Inner Loop Header: Depth=4
	s_add_i32 s74, s74, 1
	s_cmpk_lg_i32 s74, 0x2710
	s_cselect_b32 s75, -1, 0
	s_and_b32 vcc_lo, exec_lo, s75
	s_cbranch_vccz .LBB2_910
; %bb.909:                              ;   in Loop: Header=BB2_908 Depth=4
	s_mov_b32 s77, -1
	s_or_b32 s73, s73, exec_lo
	s_and_saveexec_b32 s76, s75
	s_cbranch_execz .LBB2_907
	s_branch .LBB2_911
	.p2align	6
.LBB2_910:                              ;   in Loop: Header=BB2_908 Depth=4
	s_trap 2
	ds_read_b64 v[9:10], v0
	s_andn2_b32 s75, s75, exec_lo
	s_mov_b32 s74, 0
	s_waitcnt lgkmcnt(0)
	s_waitcnt_vscnt null, 0x0
	flat_load_dword v9, v[9:10] glc dlc
	s_waitcnt vmcnt(0) lgkmcnt(0)
	buffer_gl1_inv
	buffer_gl0_inv
	v_cmp_eq_u32_e32 vcc_lo, 0, v9
	s_and_b32 s76, vcc_lo, exec_lo
	s_or_b32 s75, s75, s76
	s_mov_b32 s77, -1
	s_or_b32 s73, s73, exec_lo
	s_and_saveexec_b32 s76, s75
	s_cbranch_execz .LBB2_907
.LBB2_911:                              ;   in Loop: Header=BB2_908 Depth=4
	s_sleep 1
	s_trap 2
	ds_read_b64 v[9:10], v0
	s_waitcnt lgkmcnt(0)
	buffer_gl0_inv
	s_andn2_b32 s73, s73, exec_lo
	v_cmp_ge_u64_e32 vcc_lo, v[9:10], v[12:13]
	s_orn2_b32 s77, vcc_lo, exec_lo
	s_branch .LBB2_907
.LBB2_912:                              ;   in Loop: Header=BB2_748 Depth=3
	s_inst_prefetch 0x2
	s_or_b32 exec_lo, exec_lo, s22
	s_and_saveexec_b32 s22, s23
	s_xor_b32 s22, exec_lo, s22
	s_cbranch_execz .LBB2_914
; %bb.913:                              ;   in Loop: Header=BB2_748 Depth=3
	ds_write_b32 v0, v86
	s_trap 2
.LBB2_914:                              ;   in Loop: Header=BB2_748 Depth=3
	s_or_b32 exec_lo, exec_lo, s19
	;;#ASMSTART
	s_wakeup
	;;#ASMEND
.LBB2_915:                              ;   in Loop: Header=BB2_748 Depth=3
	s_or_b32 exec_lo, exec_lo, s18
.LBB2_916:                              ;   in Loop: Header=BB2_748 Depth=3
	s_andn2_saveexec_b32 s17, s17
	s_cbranch_execz .LBB2_918
; %bb.917:                              ;   in Loop: Header=BB2_748 Depth=3
	;;#ASMSTART
	s_waitcnt lgkmcnt(0) vmcnt(0)
	;;#ASMEND
	s_barrier
.LBB2_918:                              ;   in Loop: Header=BB2_748 Depth=3
	s_or_b32 exec_lo, exec_lo, s17
.LBB2_919:                              ;   in Loop: Header=BB2_748 Depth=3
	s_or_b32 exec_lo, exec_lo, s16
	v_cmp_ne_u32_e32 vcc_lo, 0, v8
	s_xor_b32 s16, s7, -1
	s_and_b32 s17, vcc_lo, s16
	s_and_saveexec_b32 s16, s17
	s_cbranch_execz .LBB2_921
; %bb.920:                              ;   in Loop: Header=BB2_748 Depth=3
	s_waitcnt vmcnt(0) lgkmcnt(0)
	s_waitcnt_vscnt null, 0x0
	flat_store_dword v[24:25], v86
.LBB2_921:                              ;   in Loop: Header=BB2_748 Depth=3
	s_or_b32 exec_lo, exec_lo, s16
	v_and_b32_e32 v8, 48, v71
	s_mov_b32 s16, exec_lo
	v_cmpx_ne_u32_e32 0, v8
	s_cbranch_execz .LBB2_747
; %bb.922:                              ;   in Loop: Header=BB2_748 Depth=3
	v_add_co_u32 v38, vcc_lo, v38, 2
	v_add_co_ci_u32_e64 v39, null, 0, v39, vcc_lo
	s_waitcnt vmcnt(0) lgkmcnt(0)
	s_waitcnt_vscnt null, 0x0
	flat_store_dwordx2 v[20:21], v[38:39]
	s_branch .LBB2_747
.LBB2_923:                              ;   in Loop: Header=BB2_745 Depth=2
	s_or_b32 exec_lo, exec_lo, s62
.LBB2_924:                              ;   in Loop: Header=BB2_745 Depth=2
	s_or_b32 exec_lo, exec_lo, s61
	s_mov_b32 s17, exec_lo
	v_cmpx_gt_i32_e32 2, v10
	s_cbranch_execz .LBB2_1000
; %bb.925:                              ;   in Loop: Header=BB2_745 Depth=2
	v_cmp_eq_u32_e64 s19, 0, v10
	s_mov_b32 s18, 0
	s_branch .LBB2_927
.LBB2_926:                              ;   in Loop: Header=BB2_927 Depth=3
	s_or_b32 exec_lo, exec_lo, s16
	v_add_nc_u32_e32 v55, v50, v55
	s_mov_b32 s19, 0
	s_andn2_b32 exec_lo, exec_lo, s18
	s_cbranch_execz .LBB2_999
.LBB2_927:                              ;   Parent Loop BB2_47 Depth=1
                                        ;     Parent Loop BB2_745 Depth=2
                                        ; =>    This Loop Header: Depth=3
                                        ;         Child Loop BB2_933 Depth 4
                                        ;         Child Loop BB2_961 Depth 4
	;; [unrolled: 1-line block ×3, first 2 shown]
	v_sub_nc_u32_e32 v8, v3, v55
	v_and_b32_e32 v9, 12, v71
	s_mov_b32 s22, exec_lo
	v_min_i32_e32 v50, v50, v8
	v_cmpx_ne_u32_e32 0, v9
	s_cbranch_execz .LBB2_953
; %bb.928:                              ;   in Loop: Header=BB2_927 Depth=3
	v_and_b32_e32 v53, 8, v71
	s_mov_b32 s23, exec_lo
	s_waitcnt vmcnt(0) lgkmcnt(1)
	v_add_co_u32 v10, vcc_lo, v26, v53
	v_add_co_ci_u32_e64 v11, null, 0, v27, vcc_lo
	v_add_co_u32 v8, vcc_lo, v38, 2
	v_add_co_ci_u32_e64 v9, null, 0, v39, vcc_lo
	v_cmpx_lt_u64_e64 v[10:11], v[8:9]
	s_cbranch_execz .LBB2_940
; %bb.929:                              ;   in Loop: Header=BB2_927 Depth=3
	v_and_b32_e32 v10, 64, v71
	s_mov_b32 s61, 0
	s_mov_b32 s73, 0
                                        ; implicit-def: $sgpr62
                                        ; implicit-def: $sgpr63
                                        ; implicit-def: $sgpr72
	v_cmp_eq_u32_e32 vcc_lo, 0, v10
	s_branch .LBB2_933
.LBB2_930:                              ;   in Loop: Header=BB2_933 Depth=4
	s_waitcnt vmcnt(0) lgkmcnt(0)
	v_add_co_u32 v51, s16, v26, v53
	v_add_co_ci_u32_e64 v52, null, 0, v27, s16
	s_or_b32 s76, s76, exec_lo
	v_cmp_ge_u64_e64 s16, v[51:52], v[8:9]
	s_orn2_b32 s75, s16, exec_lo
.LBB2_931:                              ;   in Loop: Header=BB2_933 Depth=4
	s_or_b32 exec_lo, exec_lo, s78
	s_andn2_b32 s16, s72, exec_lo
	s_and_b32 s72, s76, exec_lo
	s_andn2_b32 s63, s63, exec_lo
	s_and_b32 s75, s75, exec_lo
	s_or_b32 s72, s16, s72
	s_or_b32 s63, s63, s75
.LBB2_932:                              ;   in Loop: Header=BB2_933 Depth=4
	s_or_b32 exec_lo, exec_lo, s74
	s_and_b32 s16, exec_lo, s63
	s_or_b32 s61, s16, s61
	s_andn2_b32 s16, s62, exec_lo
	s_and_b32 s62, s72, exec_lo
	s_or_b32 s62, s16, s62
	s_andn2_b32 exec_lo, exec_lo, s61
	s_cbranch_execz .LBB2_937
.LBB2_933:                              ;   Parent Loop BB2_47 Depth=1
                                        ;     Parent Loop BB2_745 Depth=2
                                        ;       Parent Loop BB2_927 Depth=3
                                        ; =>      This Inner Loop Header: Depth=4
	s_sleep 1
	s_waitcnt vmcnt(0) lgkmcnt(0)
	flat_load_dwordx2 v[26:27], v[20:21] glc dlc
	s_or_b32 s72, s72, exec_lo
	s_or_b32 s63, s63, exec_lo
                                        ; implicit-def: $vgpr10
	s_and_saveexec_b32 s74, vcc_lo
	s_cbranch_execz .LBB2_932
; %bb.934:                              ;   in Loop: Header=BB2_933 Depth=4
	s_cmpk_lt_i32 s73, 0x270f
	s_mov_b32 s75, -1
	s_cselect_b32 s77, -1, 0
	s_cmpk_gt_i32 s73, 0x270e
	s_cbranch_scc0 .LBB2_936
; %bb.935:                              ;   in Loop: Header=BB2_933 Depth=4
	s_trap 2
	ds_read_b64 v[10:11], v0
	s_andn2_b32 s73, s77, exec_lo
	s_mov_b32 s76, 0
	s_waitcnt vmcnt(0) lgkmcnt(0)
	s_waitcnt_vscnt null, 0x0
	flat_load_dword v10, v[10:11] glc dlc
	s_waitcnt vmcnt(0) lgkmcnt(0)
	buffer_gl1_inv
	buffer_gl0_inv
	v_cmp_eq_u32_e64 s16, 0, v10
	s_and_b32 s16, s16, exec_lo
	s_or_b32 s77, s73, s16
	s_mov_b32 s73, 0
	s_and_saveexec_b32 s78, s77
	s_cbranch_execz .LBB2_931
	s_branch .LBB2_930
.LBB2_936:                              ;   in Loop: Header=BB2_933 Depth=4
	s_add_i32 s73, s73, 1
	s_mov_b32 s76, -1
                                        ; implicit-def: $vgpr10
	s_and_saveexec_b32 s78, s77
	s_cbranch_execz .LBB2_931
	s_branch .LBB2_930
.LBB2_937:                              ;   in Loop: Header=BB2_927 Depth=3
	s_or_b32 exec_lo, exec_lo, s61
	s_xor_b32 s16, s62, -1
	s_and_saveexec_b32 s61, s16
	s_xor_b32 s16, exec_lo, s61
	s_cbranch_execz .LBB2_939
; %bb.938:                              ;   in Loop: Header=BB2_927 Depth=3
	v_or_b32_e32 v71, 64, v71
	s_waitcnt vmcnt(0) lgkmcnt(0)
	s_waitcnt_vscnt null, 0x0
	ds_write_b32 v0, v10
	s_trap 2
.LBB2_939:                              ;   in Loop: Header=BB2_927 Depth=3
	s_or_b32 exec_lo, exec_lo, s16
.LBB2_940:                              ;   in Loop: Header=BB2_927 Depth=3
	s_or_b32 exec_lo, exec_lo, s23
	v_and_b32_e32 v10, 0x108, v71
	;;#ASMSTART
	s_wakeup
	;;#ASMEND
	v_cmp_ne_u32_e32 vcc_lo, 0x108, v10
                                        ; implicit-def: $vgpr10_vgpr11
	s_and_saveexec_b32 s16, vcc_lo
	s_xor_b32 s16, exec_lo, s16
; %bb.941:                              ;   in Loop: Header=BB2_927 Depth=3
	v_and_b32_e32 v10, 7, v38
	v_mov_b32_e32 v11, v2
                                        ; implicit-def: $vgpr38_vgpr39
; %bb.942:                              ;   in Loop: Header=BB2_927 Depth=3
	s_andn2_saveexec_b32 s16, s16
	s_cbranch_execz .LBB2_944
; %bb.943:                              ;   in Loop: Header=BB2_927 Depth=3
	v_and_b32_e32 v10, 7, v38
	v_ashrrev_i32_e32 v51, 31, v50
	v_mov_b32_e32 v11, v2
	v_mad_u64_u32 v[38:39], null, v10, 24, v[6:7]
	flat_store_dwordx2 v[38:39], v[50:51] offset:8
.LBB2_944:                              ;   in Loop: Header=BB2_927 Depth=3
	s_or_b32 exec_lo, exec_lo, s16
	v_and_b32_e32 v38, 0x100, v71
	s_mov_b32 s16, -1
	v_cmp_ne_u32_e32 vcc_lo, 0, v38
                                        ; implicit-def: $vgpr38_vgpr39
	s_and_saveexec_b32 s23, vcc_lo
	s_cbranch_execz .LBB2_948
; %bb.945:                              ;   in Loop: Header=BB2_927 Depth=3
	v_mad_u64_u32 v[51:52], null, v10, 24, v[6:7]
	v_mov_b32_e32 v38, v52
	v_mad_u64_u32 v[38:39], null, v11, 24, v[38:39]
	v_mov_b32_e32 v52, v38
	flat_load_dword v38, v[51:52]
	s_waitcnt vmcnt(0) lgkmcnt(0)
	v_cmp_eq_u32_e64 s16, 1, v38
	v_cmp_ne_u32_e32 vcc_lo, 1, v38
                                        ; implicit-def: $vgpr38_vgpr39
	s_and_saveexec_b32 s61, s16
	s_cbranch_execz .LBB2_947
; %bb.946:                              ;   in Loop: Header=BB2_927 Depth=3
	flat_load_dword v38, v[51:52] offset:4 glc dlc
	s_waitcnt vmcnt(0) lgkmcnt(0)
	v_ashrrev_i32_e32 v39, 31, v38
.LBB2_947:                              ;   in Loop: Header=BB2_927 Depth=3
	s_or_b32 exec_lo, exec_lo, s61
	s_orn2_b32 s16, vcc_lo, exec_lo
.LBB2_948:                              ;   in Loop: Header=BB2_927 Depth=3
	s_or_b32 exec_lo, exec_lo, s23
	s_and_saveexec_b32 s23, s16
; %bb.949:                              ;   in Loop: Header=BB2_927 Depth=3
	v_mul_lo_u32 v11, v11, v80
	v_mul_lo_u32 v51, v10, v30
	v_mad_u64_u32 v[38:39], null, v10, v80, 0
	v_add3_u32 v39, v39, v51, v11
; %bb.950:                              ;   in Loop: Header=BB2_927 Depth=3
	s_or_b32 exec_lo, exec_lo, s23
	v_cmp_eq_u32_e32 vcc_lo, 0, v53
	v_and_b32_e32 v52, 0x2000, v71
	s_mov_b32 s16, exec_lo
	v_cndmask_b32_e32 v51, 0xd0, v96, vcc_lo
	v_add_co_u32 v10, vcc_lo, v22, v38
	v_add_co_ci_u32_e64 v11, null, v23, v39, vcc_lo
	v_add_nc_u32_e32 v38, v0, v51
	ds_write_b64 v38, v[10:11] offset:584
	v_cmpx_ne_u32_e32 0, v52
	s_cbranch_execz .LBB2_952
; %bb.951:                              ;   in Loop: Header=BB2_927 Depth=3
	ds_read_b64 v[10:11], v0 offset:872
	s_waitcnt lgkmcnt(0)
	v_add_co_u32 v10, vcc_lo, v10, 1
	v_add_co_ci_u32_e64 v11, null, 0, v11, vcc_lo
	ds_write_b64 v0, v[10:11] offset:872
.LBB2_952:                              ;   in Loop: Header=BB2_927 Depth=3
	s_or_b32 exec_lo, exec_lo, s16
	v_mov_b32_e32 v39, v9
	v_mov_b32_e32 v38, v8
.LBB2_953:                              ;   in Loop: Header=BB2_927 Depth=3
	s_or_b32 exec_lo, exec_lo, s22
	s_xor_b32 s16, s19, -1
	s_and_b32 s16, exec_lo, s16
	s_or_b32 s18, s16, s18
	s_and_saveexec_b32 s16, s6
	s_cbranch_execz .LBB2_972
; %bb.954:                              ;   in Loop: Header=BB2_927 Depth=3
	s_and_saveexec_b32 s19, s29
	s_xor_b32 s19, exec_lo, s19
	s_cbranch_execz .LBB2_969
; %bb.955:                              ;   in Loop: Header=BB2_927 Depth=3
	s_and_saveexec_b32 s22, s11
	s_cbranch_execz .LBB2_968
; %bb.956:                              ;   in Loop: Header=BB2_927 Depth=3
	s_mov_b32 s61, exec_lo
	s_mov_b32 s23, exec_lo
	v_mbcnt_lo_u32_b32 v8, s61, 0
	s_waitcnt vmcnt(0) lgkmcnt(0)
	s_waitcnt_vscnt null, 0x0
	buffer_gl1_inv
	buffer_gl0_inv
	v_cmpx_eq_u32_e32 0, v8
	s_cbranch_execz .LBB2_958
; %bb.957:                              ;   in Loop: Header=BB2_927 Depth=3
	s_bcnt1_i32_b32 s61, s61
	v_mov_b32_e32 v9, v2
	v_mov_b32_e32 v8, s61
	ds_add_u64 v0, v[8:9]
	s_trap 2
.LBB2_958:                              ;   in Loop: Header=BB2_927 Depth=3
	s_or_b32 exec_lo, exec_lo, s23
	s_trap 2
	ds_read_b64 v[8:9], v0
	s_waitcnt lgkmcnt(0)
	buffer_gl0_inv
	v_add_co_u32 v12, vcc_lo, v12, v81
	v_add_co_ci_u32_e64 v13, null, 0, v13, vcc_lo
	s_mov_b32 s23, exec_lo
	v_cmpx_lt_u64_e64 v[8:9], v[12:13]
	s_cbranch_execz .LBB2_967
; %bb.959:                              ;   in Loop: Header=BB2_927 Depth=3
	s_mov_b32 s61, 0
	s_mov_b32 s72, 0
                                        ; implicit-def: $sgpr62
                                        ; implicit-def: $sgpr63
	s_inst_prefetch 0x1
	s_branch .LBB2_961
	.p2align	6
.LBB2_960:                              ;   in Loop: Header=BB2_961 Depth=4
	s_or_b32 exec_lo, exec_lo, s74
	s_and_b32 s73, exec_lo, s75
	s_or_b32 s61, s73, s61
	s_andn2_b32 s62, s62, exec_lo
	s_and_b32 s73, s63, exec_lo
	s_or_b32 s62, s62, s73
	s_andn2_b32 exec_lo, exec_lo, s61
	s_cbranch_execz .LBB2_965
.LBB2_961:                              ;   Parent Loop BB2_47 Depth=1
                                        ;     Parent Loop BB2_745 Depth=2
                                        ;       Parent Loop BB2_927 Depth=3
                                        ; =>      This Inner Loop Header: Depth=4
	s_add_i32 s72, s72, 1
	s_cmpk_lg_i32 s72, 0x2710
	s_cselect_b32 s73, -1, 0
	s_and_b32 vcc_lo, exec_lo, s73
	s_cbranch_vccz .LBB2_963
; %bb.962:                              ;   in Loop: Header=BB2_961 Depth=4
	s_mov_b32 s75, -1
	s_or_b32 s63, s63, exec_lo
	s_and_saveexec_b32 s74, s73
	s_cbranch_execz .LBB2_960
	s_branch .LBB2_964
	.p2align	6
.LBB2_963:                              ;   in Loop: Header=BB2_961 Depth=4
	s_trap 2
	ds_read_b64 v[8:9], v0
	s_andn2_b32 s73, s73, exec_lo
	s_mov_b32 s72, 0
	s_waitcnt lgkmcnt(0)
	flat_load_dword v8, v[8:9] glc dlc
	s_waitcnt vmcnt(0) lgkmcnt(0)
	buffer_gl1_inv
	buffer_gl0_inv
	v_cmp_eq_u32_e32 vcc_lo, 0, v8
	s_and_b32 s74, vcc_lo, exec_lo
	s_or_b32 s73, s73, s74
	s_mov_b32 s75, -1
	s_or_b32 s63, s63, exec_lo
	s_and_saveexec_b32 s74, s73
	s_cbranch_execz .LBB2_960
.LBB2_964:                              ;   in Loop: Header=BB2_961 Depth=4
	s_sleep 1
	s_trap 2
	ds_read_b64 v[8:9], v0
	s_waitcnt lgkmcnt(0)
	buffer_gl0_inv
	s_andn2_b32 s63, s63, exec_lo
	v_cmp_ge_u64_e32 vcc_lo, v[8:9], v[12:13]
	s_orn2_b32 s75, vcc_lo, exec_lo
	s_branch .LBB2_960
.LBB2_965:                              ;   in Loop: Header=BB2_927 Depth=3
	s_inst_prefetch 0x2
	s_or_b32 exec_lo, exec_lo, s61
	s_and_saveexec_b32 s61, s62
	s_xor_b32 s61, exec_lo, s61
	s_cbranch_execz .LBB2_967
; %bb.966:                              ;   in Loop: Header=BB2_927 Depth=3
	ds_write_b32 v0, v86
	s_trap 2
.LBB2_967:                              ;   in Loop: Header=BB2_927 Depth=3
	s_or_b32 exec_lo, exec_lo, s23
	;;#ASMSTART
	s_wakeup
	;;#ASMEND
.LBB2_968:                              ;   in Loop: Header=BB2_927 Depth=3
	s_or_b32 exec_lo, exec_lo, s22
.LBB2_969:                              ;   in Loop: Header=BB2_927 Depth=3
	s_andn2_saveexec_b32 s19, s19
	s_cbranch_execz .LBB2_971
; %bb.970:                              ;   in Loop: Header=BB2_927 Depth=3
	s_waitcnt vmcnt(0) lgkmcnt(0)
	s_waitcnt_vscnt null, 0x0
	buffer_gl1_inv
	buffer_gl0_inv
	s_barrier
.LBB2_971:                              ;   in Loop: Header=BB2_927 Depth=3
	s_or_b32 exec_lo, exec_lo, s19
.LBB2_972:                              ;   in Loop: Header=BB2_927 Depth=3
	s_or_b32 exec_lo, exec_lo, s16
	v_and_b32_e32 v8, 16, v71
	s_and_saveexec_b32 s16, s15
	s_xor_b32 s19, exec_lo, s16
	s_cbranch_execz .LBB2_976
; %bb.973:                              ;   in Loop: Header=BB2_927 Depth=3
	s_trap 2
	ds_read_b32 v8, v0
	v_cmp_lt_i32_e32 vcc_lo, 0, v50
	s_waitcnt lgkmcnt(0)
	v_readfirstlane_b32 s16, v8
	v_and_b32_e32 v8, 16, v71
	s_cmp_eq_u32 s16, 0
	v_cmp_ne_u32_e64 s16, 0, v8
	s_cselect_b32 s22, -1, 0
	v_and_b32_e32 v8, 16, v71
	s_and_b32 s22, vcc_lo, s22
	s_and_b32 s22, s16, s22
	s_and_saveexec_b32 s16, s22
	s_cbranch_execz .LBB2_975
; %bb.974:                              ;   in Loop: Header=BB2_927 Depth=3
	v_mov_b32_e32 v8, 1
	s_waitcnt vmcnt(0)
	s_waitcnt_vscnt null, 0x0
	buffer_gl1_inv
	buffer_gl0_inv
.LBB2_975:                              ;   in Loop: Header=BB2_927 Depth=3
	s_or_b32 exec_lo, exec_lo, s16
.LBB2_976:                              ;   in Loop: Header=BB2_927 Depth=3
	s_andn2_saveexec_b32 s16, s19
	s_cbranch_execz .LBB2_995
; %bb.977:                              ;   in Loop: Header=BB2_927 Depth=3
	s_and_saveexec_b32 s19, s29
	s_xor_b32 s19, exec_lo, s19
	s_cbranch_execz .LBB2_992
; %bb.978:                              ;   in Loop: Header=BB2_927 Depth=3
	s_and_saveexec_b32 s22, s11
	s_cbranch_execz .LBB2_991
; %bb.979:                              ;   in Loop: Header=BB2_927 Depth=3
	s_mov_b32 s61, exec_lo
	s_mov_b32 s23, exec_lo
	v_mbcnt_lo_u32_b32 v9, s61, 0
	;;#ASMSTART
	s_waitcnt lgkmcnt(0) vmcnt(0)
	;;#ASMEND
	v_cmpx_eq_u32_e32 0, v9
	s_cbranch_execz .LBB2_981
; %bb.980:                              ;   in Loop: Header=BB2_927 Depth=3
	s_bcnt1_i32_b32 s61, s61
	v_mov_b32_e32 v10, v2
	v_mov_b32_e32 v9, s61
	s_waitcnt vmcnt(0) lgkmcnt(0)
	s_waitcnt_vscnt null, 0x0
	ds_add_u64 v0, v[9:10]
	s_trap 2
.LBB2_981:                              ;   in Loop: Header=BB2_927 Depth=3
	s_or_b32 exec_lo, exec_lo, s23
	s_trap 2
	ds_read_b64 v[9:10], v0
	s_waitcnt vmcnt(0) lgkmcnt(0)
	buffer_gl0_inv
	v_add_co_u32 v12, vcc_lo, v12, v81
	v_add_co_ci_u32_e64 v13, null, 0, v13, vcc_lo
	s_mov_b32 s23, exec_lo
	v_cmpx_lt_u64_e64 v[9:10], v[12:13]
	s_cbranch_execz .LBB2_990
; %bb.982:                              ;   in Loop: Header=BB2_927 Depth=3
	s_mov_b32 s61, 0
	s_mov_b32 s72, 0
                                        ; implicit-def: $sgpr62
                                        ; implicit-def: $sgpr63
	s_inst_prefetch 0x1
	s_branch .LBB2_984
	.p2align	6
.LBB2_983:                              ;   in Loop: Header=BB2_984 Depth=4
	s_or_b32 exec_lo, exec_lo, s74
	s_and_b32 s73, exec_lo, s75
	s_or_b32 s61, s73, s61
	s_andn2_b32 s62, s62, exec_lo
	s_and_b32 s73, s63, exec_lo
	s_or_b32 s62, s62, s73
	s_andn2_b32 exec_lo, exec_lo, s61
	s_cbranch_execz .LBB2_988
.LBB2_984:                              ;   Parent Loop BB2_47 Depth=1
                                        ;     Parent Loop BB2_745 Depth=2
                                        ;       Parent Loop BB2_927 Depth=3
                                        ; =>      This Inner Loop Header: Depth=4
	s_add_i32 s72, s72, 1
	s_cmpk_lg_i32 s72, 0x2710
	s_cselect_b32 s73, -1, 0
	s_and_b32 vcc_lo, exec_lo, s73
	s_cbranch_vccz .LBB2_986
; %bb.985:                              ;   in Loop: Header=BB2_984 Depth=4
	s_mov_b32 s75, -1
	s_or_b32 s63, s63, exec_lo
	s_and_saveexec_b32 s74, s73
	s_cbranch_execz .LBB2_983
	s_branch .LBB2_987
	.p2align	6
.LBB2_986:                              ;   in Loop: Header=BB2_984 Depth=4
	s_trap 2
	ds_read_b64 v[9:10], v0
	s_andn2_b32 s73, s73, exec_lo
	s_mov_b32 s72, 0
	s_waitcnt lgkmcnt(0)
	s_waitcnt_vscnt null, 0x0
	flat_load_dword v9, v[9:10] glc dlc
	s_waitcnt vmcnt(0) lgkmcnt(0)
	buffer_gl1_inv
	buffer_gl0_inv
	v_cmp_eq_u32_e32 vcc_lo, 0, v9
	s_and_b32 s74, vcc_lo, exec_lo
	s_or_b32 s73, s73, s74
	s_mov_b32 s75, -1
	s_or_b32 s63, s63, exec_lo
	s_and_saveexec_b32 s74, s73
	s_cbranch_execz .LBB2_983
.LBB2_987:                              ;   in Loop: Header=BB2_984 Depth=4
	s_sleep 1
	s_trap 2
	ds_read_b64 v[9:10], v0
	s_waitcnt lgkmcnt(0)
	buffer_gl0_inv
	s_andn2_b32 s63, s63, exec_lo
	v_cmp_ge_u64_e32 vcc_lo, v[9:10], v[12:13]
	s_orn2_b32 s75, vcc_lo, exec_lo
	s_branch .LBB2_983
.LBB2_988:                              ;   in Loop: Header=BB2_927 Depth=3
	s_inst_prefetch 0x2
	s_or_b32 exec_lo, exec_lo, s61
	s_and_saveexec_b32 s61, s62
	s_xor_b32 s61, exec_lo, s61
	s_cbranch_execz .LBB2_990
; %bb.989:                              ;   in Loop: Header=BB2_927 Depth=3
	ds_write_b32 v0, v86
	s_trap 2
.LBB2_990:                              ;   in Loop: Header=BB2_927 Depth=3
	s_or_b32 exec_lo, exec_lo, s23
	;;#ASMSTART
	s_wakeup
	;;#ASMEND
.LBB2_991:                              ;   in Loop: Header=BB2_927 Depth=3
	s_or_b32 exec_lo, exec_lo, s22
.LBB2_992:                              ;   in Loop: Header=BB2_927 Depth=3
	s_andn2_saveexec_b32 s19, s19
	s_cbranch_execz .LBB2_994
; %bb.993:                              ;   in Loop: Header=BB2_927 Depth=3
	;;#ASMSTART
	s_waitcnt lgkmcnt(0) vmcnt(0)
	;;#ASMEND
	s_barrier
.LBB2_994:                              ;   in Loop: Header=BB2_927 Depth=3
	s_or_b32 exec_lo, exec_lo, s19
.LBB2_995:                              ;   in Loop: Header=BB2_927 Depth=3
	s_or_b32 exec_lo, exec_lo, s16
	v_cmp_ne_u32_e32 vcc_lo, 0, v8
	s_xor_b32 s16, s7, -1
	s_and_b32 s19, vcc_lo, s16
	s_and_saveexec_b32 s16, s19
	s_cbranch_execz .LBB2_997
; %bb.996:                              ;   in Loop: Header=BB2_927 Depth=3
	s_waitcnt vmcnt(0) lgkmcnt(0)
	s_waitcnt_vscnt null, 0x0
	flat_store_dword v[24:25], v86
.LBB2_997:                              ;   in Loop: Header=BB2_927 Depth=3
	s_or_b32 exec_lo, exec_lo, s16
	v_and_b32_e32 v8, 48, v71
	s_mov_b32 s16, exec_lo
	v_cmpx_ne_u32_e32 0, v8
	s_cbranch_execz .LBB2_926
; %bb.998:                              ;   in Loop: Header=BB2_927 Depth=3
	v_add_co_u32 v38, vcc_lo, v38, 2
	v_add_co_ci_u32_e64 v39, null, 0, v39, vcc_lo
	s_waitcnt vmcnt(0) lgkmcnt(0)
	s_waitcnt_vscnt null, 0x0
	flat_store_dwordx2 v[20:21], v[38:39]
	s_branch .LBB2_926
.LBB2_999:                              ;   in Loop: Header=BB2_745 Depth=2
	s_or_b32 exec_lo, exec_lo, s18
.LBB2_1000:                             ;   in Loop: Header=BB2_745 Depth=2
	s_or_b32 exec_lo, exec_lo, s17
	s_add_i32 s16, s21, 1
	s_cmp_eq_u32 s21, s56
	s_cbranch_scc1 .LBB2_1002
; %bb.1001:                             ;   in Loop: Header=BB2_745 Depth=2
	s_mov_b32 s21, s16
	s_branch .LBB2_745
.LBB2_1002:                             ;   in Loop: Header=BB2_47 Depth=1
	v_mul_lo_u32 v3, v37, s58
	v_mul_lo_u32 v10, v36, s59
	v_mad_u64_u32 v[8:9], null, v36, s58, 0
	v_mov_b32_e32 v51, 0
	v_add3_u32 v9, v9, v10, v3
	v_sub_co_u32 v10, vcc_lo, v48, v8
	v_sub_co_ci_u32_e64 v11, null, v49, v9, vcc_lo
	v_cmp_lt_i64_e32 vcc_lo, v[36:37], v[10:11]
	v_cndmask_b32_e32 v11, v10, v36, vcc_lo
	v_max_i32_e32 v3, 0, v11
	v_cmp_lt_i32_e32 vcc_lo, 0, v11
	v_add_nc_u32_e32 v10, 31, v3
	s_and_b32 s16, s57, vcc_lo
	v_lshrrev_b32_e32 v10, 1, v10
	v_and_b32_e32 v48, 0x3ffffff0, v10
	v_mov_b32_e32 v10, 0
	v_max_i32_e32 v50, s45, v48
	s_and_saveexec_b32 s18, s16
	s_cbranch_execz .LBB2_1140
; %bb.1003:                             ;   in Loop: Header=BB2_47 Depth=1
	v_add_co_u32 v52, vcc_lo, v8, v116
	v_add_co_ci_u32_e64 v53, null, v9, v117, vcc_lo
	v_mov_b32_e32 v51, 0
	s_mov_b32 s22, 1
	s_mov_b32 s21, -1
	s_mov_b32 s19, 0
	s_branch .LBB2_1005
.LBB2_1004:                             ;   in Loop: Header=BB2_1005 Depth=2
	s_or_b32 exec_lo, exec_lo, s16
	v_add_nc_u32_e32 v51, v50, v51
	s_xor_b32 s16, s21, -1
	v_mov_b32_e32 v10, s22
	s_mov_b32 s21, 0
	s_mov_b32 s22, 2
	v_cmp_ge_i32_e32 vcc_lo, v51, v3
	s_or_b32 s16, s16, vcc_lo
	s_and_b32 s16, exec_lo, s16
	s_or_b32 s19, s16, s19
	s_andn2_b32 exec_lo, exec_lo, s19
	s_cbranch_execz .LBB2_1139
.LBB2_1005:                             ;   Parent Loop BB2_47 Depth=1
                                        ; =>  This Loop Header: Depth=2
                                        ;       Child Loop BB2_1013 Depth 3
                                        ;       Child Loop BB2_1037 Depth 3
	;; [unrolled: 1-line block ×9, first 2 shown]
	s_and_saveexec_b32 s17, s4
	s_cbranch_execz .LBB2_1007
; %bb.1006:                             ;   in Loop: Header=BB2_1005 Depth=2
	s_trap 2
	ds_read_b128 v[8:11], v0
	v_ashrrev_i32_e32 v48, 31, v51
	s_waitcnt lgkmcnt(0)
	v_add_co_u32 v49, vcc_lo, v10, v52
	v_add_co_ci_u32_e64 v54, null, v11, v53, vcc_lo
	v_add_co_u32 v8, vcc_lo, v8, v52
	v_add_co_ci_u32_e64 v9, null, v9, v53, vcc_lo
	;; [unrolled: 2-line block ×3, first 2 shown]
	v_cmp_ne_u64_e32 vcc_lo, 0, v[10:11]
	v_add_co_u32 v8, s16, v8, v51
	v_add_co_ci_u32_e64 v9, null, v9, v48, s16
	v_cndmask_b32_e32 v11, 0, v54, vcc_lo
	v_cndmask_b32_e32 v10, 0, v49, vcc_lo
	ds_write_b64 v0, v[8:9]
	ds_write_b64 v0, v[10:11]
.LBB2_1007:                             ;   in Loop: Header=BB2_1005 Depth=2
	s_or_b32 exec_lo, exec_lo, s17
	v_and_b32_e32 v8, 4, v71
	s_mov_b32 s17, exec_lo
	v_cmpx_ne_u32_e32 0, v8
	s_cbranch_execz .LBB2_1029
; %bb.1008:                             ;   in Loop: Header=BB2_1005 Depth=2
	v_add_co_u32 v8, vcc_lo, v38, 2
	v_add_co_ci_u32_e64 v9, null, 0, v39, vcc_lo
	s_mov_b32 s23, exec_lo
	s_waitcnt vmcnt(0) lgkmcnt(1)
	v_cmpx_lt_u64_e64 v[26:27], v[8:9]
	s_cbranch_execz .LBB2_1020
; %bb.1009:                             ;   in Loop: Header=BB2_1005 Depth=2
	v_and_b32_e32 v10, 64, v71
	s_mov_b32 s61, 0
	s_mov_b32 s73, 0
                                        ; implicit-def: $sgpr62
                                        ; implicit-def: $sgpr63
                                        ; implicit-def: $sgpr72
	v_cmp_eq_u32_e32 vcc_lo, 0, v10
	s_branch .LBB2_1013
.LBB2_1010:                             ;   in Loop: Header=BB2_1013 Depth=3
	s_waitcnt vmcnt(0) lgkmcnt(0)
	v_cmp_ge_u64_e64 s16, v[26:27], v[8:9]
	s_or_b32 s76, s76, exec_lo
	s_orn2_b32 s75, s16, exec_lo
.LBB2_1011:                             ;   in Loop: Header=BB2_1013 Depth=3
	s_or_b32 exec_lo, exec_lo, s78
	s_andn2_b32 s16, s72, exec_lo
	s_and_b32 s72, s76, exec_lo
	s_andn2_b32 s63, s63, exec_lo
	s_and_b32 s75, s75, exec_lo
	s_or_b32 s72, s16, s72
	s_or_b32 s63, s63, s75
.LBB2_1012:                             ;   in Loop: Header=BB2_1013 Depth=3
	s_or_b32 exec_lo, exec_lo, s74
	s_and_b32 s16, exec_lo, s63
	s_or_b32 s61, s16, s61
	s_andn2_b32 s16, s62, exec_lo
	s_and_b32 s62, s72, exec_lo
	s_or_b32 s62, s16, s62
	s_andn2_b32 exec_lo, exec_lo, s61
	s_cbranch_execz .LBB2_1017
.LBB2_1013:                             ;   Parent Loop BB2_47 Depth=1
                                        ;     Parent Loop BB2_1005 Depth=2
                                        ; =>    This Inner Loop Header: Depth=3
	s_sleep 1
	s_waitcnt vmcnt(0) lgkmcnt(0)
	flat_load_dwordx2 v[26:27], v[20:21] glc dlc
	s_or_b32 s72, s72, exec_lo
	s_or_b32 s63, s63, exec_lo
                                        ; implicit-def: $vgpr10
	s_and_saveexec_b32 s74, vcc_lo
	s_cbranch_execz .LBB2_1012
; %bb.1014:                             ;   in Loop: Header=BB2_1013 Depth=3
	s_cmpk_lt_i32 s73, 0x270f
	s_mov_b32 s75, -1
	s_cselect_b32 s77, -1, 0
	s_cmpk_gt_i32 s73, 0x270e
	s_cbranch_scc0 .LBB2_1016
; %bb.1015:                             ;   in Loop: Header=BB2_1013 Depth=3
	s_trap 2
	ds_read_b64 v[10:11], v0
	s_andn2_b32 s73, s77, exec_lo
	s_mov_b32 s76, 0
	s_waitcnt vmcnt(0) lgkmcnt(0)
	s_waitcnt_vscnt null, 0x0
	flat_load_dword v10, v[10:11] glc dlc
	s_waitcnt vmcnt(0) lgkmcnt(0)
	buffer_gl1_inv
	buffer_gl0_inv
	v_cmp_eq_u32_e64 s16, 0, v10
	s_and_b32 s16, s16, exec_lo
	s_or_b32 s77, s73, s16
	s_mov_b32 s73, 0
	s_and_saveexec_b32 s78, s77
	s_cbranch_execz .LBB2_1011
	s_branch .LBB2_1010
.LBB2_1016:                             ;   in Loop: Header=BB2_1013 Depth=3
	s_add_i32 s73, s73, 1
	s_mov_b32 s76, -1
                                        ; implicit-def: $vgpr10
	s_and_saveexec_b32 s78, s77
	s_cbranch_execz .LBB2_1011
	s_branch .LBB2_1010
.LBB2_1017:                             ;   in Loop: Header=BB2_1005 Depth=2
	s_or_b32 exec_lo, exec_lo, s61
	s_xor_b32 s16, s62, -1
	s_and_saveexec_b32 s61, s16
	s_xor_b32 s16, exec_lo, s61
	s_cbranch_execz .LBB2_1019
; %bb.1018:                             ;   in Loop: Header=BB2_1005 Depth=2
	v_or_b32_e32 v71, 64, v71
	s_waitcnt vmcnt(0) lgkmcnt(0)
	s_waitcnt_vscnt null, 0x0
	ds_write_b32 v0, v10
	s_trap 2
.LBB2_1019:                             ;   in Loop: Header=BB2_1005 Depth=2
	s_or_b32 exec_lo, exec_lo, s16
.LBB2_1020:                             ;   in Loop: Header=BB2_1005 Depth=2
	s_or_b32 exec_lo, exec_lo, s23
	v_and_b32_e32 v10, 0x100, v71
	v_and_b32_e32 v48, 7, v38
	s_mov_b32 s16, -1
	;;#ASMSTART
	s_wakeup
	;;#ASMEND
	v_cmp_ne_u32_e32 vcc_lo, 0, v10
                                        ; implicit-def: $vgpr10_vgpr11
	s_and_saveexec_b32 s23, vcc_lo
	s_cbranch_execz .LBB2_1024
; %bb.1021:                             ;   in Loop: Header=BB2_1005 Depth=2
	v_mad_u64_u32 v[38:39], null, v48, 24, v[6:7]
	flat_load_dword v10, v[38:39]
	s_waitcnt vmcnt(0) lgkmcnt(0)
	v_cmp_eq_u32_e64 s16, 1, v10
	v_cmp_ne_u32_e32 vcc_lo, 1, v10
                                        ; implicit-def: $vgpr10_vgpr11
	s_and_saveexec_b32 s61, s16
	s_cbranch_execz .LBB2_1023
; %bb.1022:                             ;   in Loop: Header=BB2_1005 Depth=2
	flat_load_dword v10, v[38:39] offset:4 glc dlc
	s_waitcnt vmcnt(0) lgkmcnt(0)
	v_ashrrev_i32_e32 v11, 31, v10
.LBB2_1023:                             ;   in Loop: Header=BB2_1005 Depth=2
	s_or_b32 exec_lo, exec_lo, s61
	s_orn2_b32 s16, vcc_lo, exec_lo
.LBB2_1024:                             ;   in Loop: Header=BB2_1005 Depth=2
	s_or_b32 exec_lo, exec_lo, s23
	s_and_saveexec_b32 s23, s16
; %bb.1025:                             ;   in Loop: Header=BB2_1005 Depth=2
	v_mad_i64_i32 v[10:11], null, v48, v80, 0
; %bb.1026:                             ;   in Loop: Header=BB2_1005 Depth=2
	s_or_b32 exec_lo, exec_lo, s23
	v_add_co_u32 v10, vcc_lo, v22, v10
	v_and_b32_e32 v38, 0x2000, v71
	v_add_co_ci_u32_e64 v11, null, v23, v11, vcc_lo
	s_mov_b32 s16, exec_lo
	ds_write_b64 v0, v[10:11] offset:720
	v_cmpx_ne_u32_e32 0, v38
	s_cbranch_execz .LBB2_1028
; %bb.1027:                             ;   in Loop: Header=BB2_1005 Depth=2
	ds_read_b64 v[10:11], v0 offset:872
	s_waitcnt lgkmcnt(0)
	v_add_co_u32 v10, vcc_lo, v10, 1
	v_add_co_ci_u32_e64 v11, null, 0, v11, vcc_lo
	ds_write_b64 v0, v[10:11] offset:872
.LBB2_1028:                             ;   in Loop: Header=BB2_1005 Depth=2
	s_or_b32 exec_lo, exec_lo, s16
	v_mov_b32_e32 v39, v9
	v_mov_b32_e32 v38, v8
.LBB2_1029:                             ;   in Loop: Header=BB2_1005 Depth=2
	s_or_b32 exec_lo, exec_lo, s17
	s_and_saveexec_b32 s16, s6
	s_cbranch_execz .LBB2_1048
; %bb.1030:                             ;   in Loop: Header=BB2_1005 Depth=2
	s_and_saveexec_b32 s17, s29
	s_xor_b32 s17, exec_lo, s17
	s_cbranch_execz .LBB2_1045
; %bb.1031:                             ;   in Loop: Header=BB2_1005 Depth=2
	s_and_saveexec_b32 s23, s11
	s_cbranch_execz .LBB2_1044
; %bb.1032:                             ;   in Loop: Header=BB2_1005 Depth=2
	s_mov_b32 s62, exec_lo
	s_mov_b32 s61, exec_lo
	v_mbcnt_lo_u32_b32 v8, s62, 0
	s_waitcnt vmcnt(0) lgkmcnt(0)
	s_waitcnt_vscnt null, 0x0
	buffer_gl1_inv
	buffer_gl0_inv
	v_cmpx_eq_u32_e32 0, v8
	s_cbranch_execz .LBB2_1034
; %bb.1033:                             ;   in Loop: Header=BB2_1005 Depth=2
	s_bcnt1_i32_b32 s62, s62
	v_mov_b32_e32 v9, v2
	v_mov_b32_e32 v8, s62
	ds_add_u64 v0, v[8:9]
	s_trap 2
.LBB2_1034:                             ;   in Loop: Header=BB2_1005 Depth=2
	s_or_b32 exec_lo, exec_lo, s61
	s_trap 2
	ds_read_b64 v[8:9], v0
	s_waitcnt lgkmcnt(0)
	buffer_gl0_inv
	v_add_co_u32 v12, vcc_lo, v12, v81
	v_add_co_ci_u32_e64 v13, null, 0, v13, vcc_lo
	s_mov_b32 s61, exec_lo
	v_cmpx_lt_u64_e64 v[8:9], v[12:13]
	s_cbranch_execz .LBB2_1043
; %bb.1035:                             ;   in Loop: Header=BB2_1005 Depth=2
	s_mov_b32 s62, 0
	s_mov_b32 s73, 0
                                        ; implicit-def: $sgpr63
                                        ; implicit-def: $sgpr72
	s_inst_prefetch 0x1
	s_branch .LBB2_1037
	.p2align	6
.LBB2_1036:                             ;   in Loop: Header=BB2_1037 Depth=3
	s_or_b32 exec_lo, exec_lo, s75
	s_and_b32 s74, exec_lo, s76
	s_or_b32 s62, s74, s62
	s_andn2_b32 s63, s63, exec_lo
	s_and_b32 s74, s72, exec_lo
	s_or_b32 s63, s63, s74
	s_andn2_b32 exec_lo, exec_lo, s62
	s_cbranch_execz .LBB2_1041
.LBB2_1037:                             ;   Parent Loop BB2_47 Depth=1
                                        ;     Parent Loop BB2_1005 Depth=2
                                        ; =>    This Inner Loop Header: Depth=3
	s_add_i32 s73, s73, 1
	s_cmpk_lg_i32 s73, 0x2710
	s_cselect_b32 s74, -1, 0
	s_and_b32 vcc_lo, exec_lo, s74
	s_cbranch_vccz .LBB2_1039
; %bb.1038:                             ;   in Loop: Header=BB2_1037 Depth=3
	s_mov_b32 s76, -1
	s_or_b32 s72, s72, exec_lo
	s_and_saveexec_b32 s75, s74
	s_cbranch_execz .LBB2_1036
	s_branch .LBB2_1040
	.p2align	6
.LBB2_1039:                             ;   in Loop: Header=BB2_1037 Depth=3
	s_trap 2
	ds_read_b64 v[8:9], v0
	s_andn2_b32 s74, s74, exec_lo
	s_mov_b32 s73, 0
	s_waitcnt lgkmcnt(0)
	flat_load_dword v8, v[8:9] glc dlc
	s_waitcnt vmcnt(0) lgkmcnt(0)
	buffer_gl1_inv
	buffer_gl0_inv
	v_cmp_eq_u32_e32 vcc_lo, 0, v8
	s_and_b32 s75, vcc_lo, exec_lo
	s_or_b32 s74, s74, s75
	s_mov_b32 s76, -1
	s_or_b32 s72, s72, exec_lo
	s_and_saveexec_b32 s75, s74
	s_cbranch_execz .LBB2_1036
.LBB2_1040:                             ;   in Loop: Header=BB2_1037 Depth=3
	s_sleep 1
	s_trap 2
	ds_read_b64 v[8:9], v0
	s_waitcnt lgkmcnt(0)
	buffer_gl0_inv
	s_andn2_b32 s72, s72, exec_lo
	v_cmp_ge_u64_e32 vcc_lo, v[8:9], v[12:13]
	s_orn2_b32 s76, vcc_lo, exec_lo
	s_branch .LBB2_1036
.LBB2_1041:                             ;   in Loop: Header=BB2_1005 Depth=2
	s_inst_prefetch 0x2
	s_or_b32 exec_lo, exec_lo, s62
	s_and_saveexec_b32 s62, s63
	s_xor_b32 s62, exec_lo, s62
	s_cbranch_execz .LBB2_1043
; %bb.1042:                             ;   in Loop: Header=BB2_1005 Depth=2
	ds_write_b32 v0, v86
	s_trap 2
.LBB2_1043:                             ;   in Loop: Header=BB2_1005 Depth=2
	s_or_b32 exec_lo, exec_lo, s61
	;;#ASMSTART
	s_wakeup
	;;#ASMEND
.LBB2_1044:                             ;   in Loop: Header=BB2_1005 Depth=2
	s_or_b32 exec_lo, exec_lo, s23
.LBB2_1045:                             ;   in Loop: Header=BB2_1005 Depth=2
	s_andn2_saveexec_b32 s17, s17
	s_cbranch_execz .LBB2_1047
; %bb.1046:                             ;   in Loop: Header=BB2_1005 Depth=2
	s_waitcnt vmcnt(0) lgkmcnt(0)
	s_waitcnt_vscnt null, 0x0
	buffer_gl1_inv
	buffer_gl0_inv
	s_barrier
.LBB2_1047:                             ;   in Loop: Header=BB2_1005 Depth=2
	s_or_b32 exec_lo, exec_lo, s17
.LBB2_1048:                             ;   in Loop: Header=BB2_1005 Depth=2
	s_or_b32 exec_lo, exec_lo, s16
	s_trap 2
	ds_read_b32 v48, v0
	v_and_b32_e32 v8, 0x4000, v71
	s_xor_b32 s16, s5, -1
	v_cmp_ne_u32_e32 vcc_lo, 0, v8
	s_and_b32 s17, s16, vcc_lo
	s_and_saveexec_b32 s16, s17
	s_cbranch_execz .LBB2_1067
; %bb.1049:                             ;   in Loop: Header=BB2_1005 Depth=2
	s_and_saveexec_b32 s17, s29
	s_xor_b32 s17, exec_lo, s17
	s_cbranch_execz .LBB2_1064
; %bb.1050:                             ;   in Loop: Header=BB2_1005 Depth=2
	s_and_saveexec_b32 s23, s11
	s_cbranch_execz .LBB2_1063
; %bb.1051:                             ;   in Loop: Header=BB2_1005 Depth=2
	s_mov_b32 s62, exec_lo
	s_mov_b32 s61, exec_lo
	v_mbcnt_lo_u32_b32 v8, s62, 0
	s_waitcnt vmcnt(0) lgkmcnt(0)
	s_waitcnt_vscnt null, 0x0
	buffer_gl1_inv
	buffer_gl0_inv
	v_cmpx_eq_u32_e32 0, v8
	s_cbranch_execz .LBB2_1053
; %bb.1052:                             ;   in Loop: Header=BB2_1005 Depth=2
	s_bcnt1_i32_b32 s62, s62
	v_mov_b32_e32 v9, v2
	v_mov_b32_e32 v8, s62
	ds_add_u64 v0, v[8:9]
	s_trap 2
.LBB2_1053:                             ;   in Loop: Header=BB2_1005 Depth=2
	s_or_b32 exec_lo, exec_lo, s61
	s_trap 2
	ds_read_b64 v[8:9], v0
	s_waitcnt lgkmcnt(0)
	buffer_gl0_inv
	v_add_co_u32 v12, vcc_lo, v12, v81
	v_add_co_ci_u32_e64 v13, null, 0, v13, vcc_lo
	s_mov_b32 s61, exec_lo
	v_cmpx_lt_u64_e64 v[8:9], v[12:13]
	s_cbranch_execz .LBB2_1062
; %bb.1054:                             ;   in Loop: Header=BB2_1005 Depth=2
	s_mov_b32 s62, 0
	s_mov_b32 s73, 0
                                        ; implicit-def: $sgpr63
                                        ; implicit-def: $sgpr72
	s_inst_prefetch 0x1
	s_branch .LBB2_1056
	.p2align	6
.LBB2_1055:                             ;   in Loop: Header=BB2_1056 Depth=3
	s_or_b32 exec_lo, exec_lo, s75
	s_and_b32 s74, exec_lo, s76
	s_or_b32 s62, s74, s62
	s_andn2_b32 s63, s63, exec_lo
	s_and_b32 s74, s72, exec_lo
	s_or_b32 s63, s63, s74
	s_andn2_b32 exec_lo, exec_lo, s62
	s_cbranch_execz .LBB2_1060
.LBB2_1056:                             ;   Parent Loop BB2_47 Depth=1
                                        ;     Parent Loop BB2_1005 Depth=2
                                        ; =>    This Inner Loop Header: Depth=3
	s_add_i32 s73, s73, 1
	s_cmpk_lg_i32 s73, 0x2710
	s_cselect_b32 s74, -1, 0
	s_and_b32 vcc_lo, exec_lo, s74
	s_cbranch_vccz .LBB2_1058
; %bb.1057:                             ;   in Loop: Header=BB2_1056 Depth=3
	s_mov_b32 s76, -1
	s_or_b32 s72, s72, exec_lo
	s_and_saveexec_b32 s75, s74
	s_cbranch_execz .LBB2_1055
	s_branch .LBB2_1059
	.p2align	6
.LBB2_1058:                             ;   in Loop: Header=BB2_1056 Depth=3
	s_trap 2
	ds_read_b64 v[8:9], v0
	s_andn2_b32 s74, s74, exec_lo
	s_mov_b32 s73, 0
	s_waitcnt lgkmcnt(0)
	flat_load_dword v8, v[8:9] glc dlc
	s_waitcnt vmcnt(0) lgkmcnt(0)
	buffer_gl1_inv
	buffer_gl0_inv
	v_cmp_eq_u32_e32 vcc_lo, 0, v8
	s_and_b32 s75, vcc_lo, exec_lo
	s_or_b32 s74, s74, s75
	s_mov_b32 s76, -1
	s_or_b32 s72, s72, exec_lo
	s_and_saveexec_b32 s75, s74
	s_cbranch_execz .LBB2_1055
.LBB2_1059:                             ;   in Loop: Header=BB2_1056 Depth=3
	s_sleep 1
	s_trap 2
	ds_read_b64 v[8:9], v0
	s_waitcnt lgkmcnt(0)
	buffer_gl0_inv
	s_andn2_b32 s72, s72, exec_lo
	v_cmp_ge_u64_e32 vcc_lo, v[8:9], v[12:13]
	s_orn2_b32 s76, vcc_lo, exec_lo
	s_branch .LBB2_1055
.LBB2_1060:                             ;   in Loop: Header=BB2_1005 Depth=2
	s_inst_prefetch 0x2
	s_or_b32 exec_lo, exec_lo, s62
	s_and_saveexec_b32 s62, s63
	s_xor_b32 s62, exec_lo, s62
	s_cbranch_execz .LBB2_1062
; %bb.1061:                             ;   in Loop: Header=BB2_1005 Depth=2
	ds_write_b32 v0, v86
	s_trap 2
.LBB2_1062:                             ;   in Loop: Header=BB2_1005 Depth=2
	s_or_b32 exec_lo, exec_lo, s61
	;;#ASMSTART
	s_wakeup
	;;#ASMEND
.LBB2_1063:                             ;   in Loop: Header=BB2_1005 Depth=2
	s_or_b32 exec_lo, exec_lo, s23
.LBB2_1064:                             ;   in Loop: Header=BB2_1005 Depth=2
	s_andn2_saveexec_b32 s17, s17
	s_cbranch_execz .LBB2_1066
; %bb.1065:                             ;   in Loop: Header=BB2_1005 Depth=2
	s_waitcnt vmcnt(0) lgkmcnt(0)
	s_waitcnt_vscnt null, 0x0
	buffer_gl1_inv
	buffer_gl0_inv
	s_barrier
.LBB2_1066:                             ;   in Loop: Header=BB2_1005 Depth=2
	s_or_b32 exec_lo, exec_lo, s17
.LBB2_1067:                             ;   in Loop: Header=BB2_1005 Depth=2
	s_or_b32 exec_lo, exec_lo, s16
	s_trap 2
	ds_read_b64 v[8:9], v0
	v_sub_nc_u32_e32 v10, v3, v51
	v_min_i32_e32 v50, v50, v10
	s_waitcnt lgkmcnt(0)
	v_cmp_eq_u64_e32 vcc_lo, 0, v[8:9]
	s_cbranch_vccnz .LBB2_1075
; %bb.1068:                             ;   in Loop: Header=BB2_1005 Depth=2
	s_trap 2
	ds_read_b64 v[10:11], v0
	s_waitcnt lgkmcnt(0)
	v_cmp_eq_u64_e32 vcc_lo, 0, v[10:11]
	s_cbranch_vccnz .LBB2_1075
; %bb.1069:                             ;   in Loop: Header=BB2_1005 Depth=2
	s_mov_b32 s16, -1
	s_and_saveexec_b32 s17, s13
	s_cbranch_execz .LBB2_1071
; %bb.1070:                             ;   in Loop: Header=BB2_1005 Depth=2
	ds_read_b32 v49, v0 offset:720
	s_waitcnt lgkmcnt(0)
	v_and_b32_e32 v49, 15, v49
	v_cmp_eq_u32_e32 vcc_lo, 0, v49
	s_orn2_b32 s16, vcc_lo, exec_lo
.LBB2_1071:                             ;   in Loop: Header=BB2_1005 Depth=2
	s_or_b32 exec_lo, exec_lo, s17
	s_and_saveexec_b32 s17, s12
	s_cbranch_execz .LBB2_1073
; %bb.1072:                             ;   in Loop: Header=BB2_1005 Depth=2
	ds_read_b32 v49, v0 offset:784
	s_waitcnt lgkmcnt(0)
	v_and_b32_e32 v49, 15, v49
	v_cmp_eq_u32_e32 vcc_lo, 0, v49
	s_and_b32 s23, s16, vcc_lo
	s_andn2_b32 s16, s16, exec_lo
	s_and_b32 s23, s23, exec_lo
	s_or_b32 s16, s16, s23
.LBB2_1073:                             ;   in Loop: Header=BB2_1005 Depth=2
	s_or_b32 exec_lo, exec_lo, s17
	v_cmp_eq_u32_e32 vcc_lo, 0, v48
	s_xor_b32 s16, s16, -1
	v_mov_b32_e32 v48, 0
	v_cndmask_b32_e64 v49, 0, 1, s16
	v_mov_b32_e32 v55, v0
	v_cndmask_b32_e32 v54, 0, v50, vcc_lo
	s_mov_b32 s16, -1
	v_cmp_ne_u32_e32 vcc_lo, 0, v49
	v_mov_b32_e32 v49, v54
	s_cbranch_vccz .LBB2_1080
; %bb.1074:                             ;   in Loop: Header=BB2_1005 Depth=2
	s_and_saveexec_b32 s17, s16
	s_cbranch_execnz .LBB2_1091
	s_branch .LBB2_1099
.LBB2_1075:                             ;   in Loop: Header=BB2_1005 Depth=2
	s_mov_b32 s16, 0
	s_and_saveexec_b32 s17, s6
	s_cbranch_execnz .LBB2_1100
.LBB2_1076:                             ;   in Loop: Header=BB2_1005 Depth=2
	s_or_b32 exec_lo, exec_lo, s17
	s_and_saveexec_b32 s17, s15
	s_xor_b32 s17, exec_lo, s17
	s_cbranch_execz .LBB2_1118
.LBB2_1077:                             ;   in Loop: Header=BB2_1005 Depth=2
	v_and_b32_e32 v8, 16, v71
	v_cmp_ne_u32_e32 vcc_lo, 0, v8
	s_and_b32 s23, vcc_lo, s16
	s_and_saveexec_b32 s16, s23
	s_cbranch_execz .LBB2_1079
; %bb.1078:                             ;   in Loop: Header=BB2_1005 Depth=2
	s_waitcnt vmcnt(0) lgkmcnt(0)
	s_waitcnt_vscnt null, 0x0
	buffer_gl1_inv
	buffer_gl0_inv
.LBB2_1079:                             ;   in Loop: Header=BB2_1005 Depth=2
	s_or_b32 exec_lo, exec_lo, s16
	s_andn2_saveexec_b32 s16, s17
	s_cbranch_execz .LBB2_1137
	s_branch .LBB2_1119
.LBB2_1080:                             ;   in Loop: Header=BB2_1005 Depth=2
	v_ashrrev_i32_e32 v48, 31, v54
	s_mov_b32 s17, exec_lo
	v_lshrrev_b32_e32 v48, 22, v48
	v_add_nc_u32_e32 v48, v54, v48
	v_ashrrev_i32_e32 v55, 10, v48
	v_sub_nc_u32_e32 v65, v55, v83
	v_cmpx_lt_i32_e32 0, v65
	s_cbranch_execz .LBB2_1084
; %bb.1081:                             ;   in Loop: Header=BB2_1005 Depth=2
	v_mov_b32_e32 v49, v35
	v_mov_b32_e32 v48, v34
	s_mov_b32 s23, 0
	.p2align	6
.LBB2_1082:                             ;   Parent Loop BB2_47 Depth=1
                                        ;     Parent Loop BB2_1005 Depth=2
                                        ; =>    This Inner Loop Header: Depth=3
	v_add_co_u32 v116, vcc_lo, v8, v48
	v_add_co_ci_u32_e64 v117, null, v9, v49, vcc_lo
	v_sub_nc_u32_e32 v65, v65, v81
	v_add_co_u32 v40, vcc_lo, v10, v48
	s_clause 0x1
	global_load_dwordx4 v[66:69], v[116:117], off slc
	global_load_dwordx4 v[116:119], v[116:117], off offset:512 slc
	v_add_co_ci_u32_e64 v41, null, v11, v49, vcc_lo
	v_cmp_gt_i32_e32 vcc_lo, 1, v65
	v_add_co_u32 v48, s16, v48, v97
	v_add_co_ci_u32_e64 v49, null, 0, v49, s16
	s_or_b32 s23, vcc_lo, s23
	s_waitcnt vmcnt(1)
	global_store_dwordx4 v[40:41], v[66:69], off glc slc
	s_waitcnt vmcnt(0)
	global_store_dwordx4 v[40:41], v[116:119], off offset:512 glc slc
	s_andn2_b32 exec_lo, exec_lo, s23
	s_cbranch_execnz .LBB2_1082
; %bb.1083:                             ;   in Loop: Header=BB2_1005 Depth=2
	s_or_b32 exec_lo, exec_lo, s23
.LBB2_1084:                             ;   in Loop: Header=BB2_1005 Depth=2
	s_or_b32 exec_lo, exec_lo, s17
	v_lshlrev_b32_e32 v64, 10, v55
	v_mov_b32_e32 v48, 0
	s_mov_b32 s16, 0
	s_mov_b32 s23, exec_lo
                                        ; implicit-def: $vgpr49
                                        ; implicit-def: $vgpr55
	v_cmpx_ne_u32_e64 v54, v64
	s_cbranch_execz .LBB2_1090
; %bb.1085:                             ;   in Loop: Header=BB2_1005 Depth=2
	v_lshlrev_b32_e32 v48, 5, v65
	v_sub_nc_u32_e32 v65, v54, v64
	s_mov_b32 s61, exec_lo
	v_sub_nc_u32_e32 v48, v82, v48
	v_ashrrev_i32_e32 v55, 31, v65
	v_ashrrev_i32_e32 v49, 31, v48
	v_lshrrev_b32_e32 v55, 23, v55
	v_lshrrev_b32_e32 v49, 27, v49
	v_add_nc_u32_e32 v67, v65, v55
	v_add_nc_u32_e32 v49, v48, v49
	v_ashrrev_i32_e32 v69, 9, v67
	v_and_b32_e32 v66, 0xffffffe0, v49
	v_ashrrev_i32_e32 v68, 5, v49
	v_sub_nc_u32_e32 v55, v48, v66
	v_and_b32_e32 v48, 0xfffffe00, v67
	v_lshlrev_b32_e32 v66, 4, v55
	v_sub_nc_u32_e32 v49, v65, v48
	v_lshl_add_u32 v67, v68, 9, v66
	v_cmp_lt_i32_e32 vcc_lo, 15, v49
	v_sub_nc_u32_e32 v66, v65, v67
	v_add_co_ci_u32_e64 v69, null, 0, v69, vcc_lo
	v_sub_nc_u32_e32 v65, v69, v68
	v_cmpx_lt_i32_e32 15, v66
	s_cbranch_execz .LBB2_1089
; %bb.1086:                             ;   in Loop: Header=BB2_1005 Depth=2
	v_add_nc_u32_e32 v67, v67, v64
	s_mov_b32 s62, 0
	v_ashrrev_i32_e32 v68, 31, v67
	.p2align	6
.LBB2_1087:                             ;   Parent Loop BB2_47 Depth=1
                                        ;     Parent Loop BB2_1005 Depth=2
                                        ; =>    This Inner Loop Header: Depth=3
	v_add_co_u32 v116, s16, v8, v67
	v_add_co_ci_u32_e64 v117, null, v9, v68, s16
	v_sub_nc_u32_e32 v66, v66, v98
	v_add_co_u32 v40, s16, v10, v67
	global_load_dwordx4 v[116:119], v[116:117], off slc
	v_add_co_ci_u32_e64 v41, null, v11, v68, s16
	v_cmp_gt_i32_e64 s16, 16, v66
	v_add_co_u32 v67, s17, v67, v98
	v_sub_nc_u32_e32 v65, v65, v81
	v_add_co_ci_u32_e64 v68, null, 0, v68, s17
	s_or_b32 s62, s16, s62
	s_waitcnt vmcnt(0)
	global_store_dwordx4 v[40:41], v[116:119], off glc slc
	s_andn2_b32 exec_lo, exec_lo, s62
	s_cbranch_execnz .LBB2_1087
; %bb.1088:                             ;   in Loop: Header=BB2_1005 Depth=2
	s_or_b32 exec_lo, exec_lo, s62
.LBB2_1089:                             ;   in Loop: Header=BB2_1005 Depth=2
	s_or_b32 exec_lo, exec_lo, s61
	v_and_b32_e32 v66, 15, v54
	v_cmp_lt_i32_e64 s16, 0, v65
	v_sub_nc_u32_e32 v67, v49, v66
	v_cndmask_b32_e64 v68, 0, v81, s16
	v_cndmask_b32_e32 v49, v49, v66, vcc_lo
	v_cndmask_b32_e32 v66, 0, v67, vcc_lo
	v_sub_nc_u32_e32 v65, v68, v65
	v_cmp_ne_u32_e32 vcc_lo, 0, v49
	v_add3_u32 v48, v48, v64, v66
	v_lshl_add_u32 v55, v65, 5, v55
	s_and_b32 s16, vcc_lo, exec_lo
.LBB2_1090:                             ;   in Loop: Header=BB2_1005 Depth=2
	s_or_b32 exec_lo, exec_lo, s23
	s_and_saveexec_b32 s17, s16
	s_cbranch_execz .LBB2_1099
.LBB2_1091:                             ;   in Loop: Header=BB2_1005 Depth=2
	v_ashrrev_i32_e32 v64, 31, v55
	v_ashrrev_i32_e32 v65, 31, v49
	s_mov_b32 s16, exec_lo
	v_lshrrev_b32_e32 v64, 27, v64
	v_add_nc_u32_sdwa v65, v49, v65 dst_sel:DWORD dst_unused:UNUSED_PAD src0_sel:DWORD src1_sel:BYTE_3
	v_add_nc_u32_e32 v67, v55, v64
	v_ashrrev_i32_e32 v66, 8, v65
	v_ashrrev_i32_e32 v64, 5, v67
	v_sub_nc_u32_e32 v65, v66, v64
	v_cmpx_lt_i32_e32 0, v65
	s_cbranch_execz .LBB2_1095
; %bb.1092:                             ;   in Loop: Header=BB2_1005 Depth=2
	v_and_b32_e32 v67, 0xffffffe0, v67
	v_lshlrev_b32_e32 v68, 8, v64
	s_mov_b32 s23, 0
	v_sub_nc_u32_e32 v67, v55, v67
	v_add3_u32 v67, v48, v67, v68
	v_ashrrev_i32_e32 v68, 31, v67
.LBB2_1093:                             ;   Parent Loop BB2_47 Depth=1
                                        ;     Parent Loop BB2_1005 Depth=2
                                        ; =>    This Inner Loop Header: Depth=3
	v_add_co_u32 v116, vcc_lo, v67, v8
	v_add_co_ci_u32_e64 v117, null, v68, v9, vcc_lo
	v_sub_nc_u32_e32 v65, v65, v81
	s_clause 0x7
	flat_load_ubyte v69, v[116:117] slc
	flat_load_ubyte v118, v[116:117] offset:32 slc
	flat_load_ubyte v119, v[116:117] offset:64 slc
	;; [unrolled: 1-line block ×7, first 2 shown]
	v_add_co_u32 v116, vcc_lo, v67, v10
	v_add_co_ci_u32_e64 v117, null, v68, v11, vcc_lo
	v_add_co_u32 v8, vcc_lo, v8, v99
	v_add_co_ci_u32_e64 v9, null, 0, v9, vcc_lo
	;; [unrolled: 2-line block ×3, first 2 shown]
	v_cmp_gt_i32_e32 vcc_lo, 1, v65
	s_waitcnt vmcnt(7) lgkmcnt(7)
	flat_store_byte v[116:117], v69 glc slc
	s_waitcnt vmcnt(6) lgkmcnt(7)
	flat_store_byte v[116:117], v118 offset:32 glc slc
	s_waitcnt vmcnt(5) lgkmcnt(7)
	flat_store_byte v[116:117], v119 offset:64 glc slc
	;; [unrolled: 2-line block ×7, first 2 shown]
	s_or_b32 s23, vcc_lo, s23
	s_andn2_b32 exec_lo, exec_lo, s23
	s_cbranch_execnz .LBB2_1093
; %bb.1094:                             ;   in Loop: Header=BB2_1005 Depth=2
	s_or_b32 exec_lo, exec_lo, s23
.LBB2_1095:                             ;   in Loop: Header=BB2_1005 Depth=2
	s_or_b32 exec_lo, exec_lo, s16
	v_lshlrev_b32_e32 v8, 8, v66
	v_cmp_ne_u32_e32 vcc_lo, v49, v8
	s_and_b32 exec_lo, exec_lo, vcc_lo
	s_cbranch_execz .LBB2_1099
; %bb.1096:                             ;   in Loop: Header=BB2_1005 Depth=2
	v_lshlrev_b32_e32 v9, 5, v64
	v_lshlrev_b32_e32 v10, 5, v65
	v_sub_nc_u32_e32 v9, v55, v9
	v_sub_nc_u32_e32 v9, v9, v10
	v_add_nc_u32_e32 v11, v8, v9
	v_sub_nc_u32_e32 v10, v49, v11
	v_cmp_lt_i32_e32 vcc_lo, 0, v10
	s_and_b32 exec_lo, exec_lo, vcc_lo
	s_cbranch_execz .LBB2_1099
; %bb.1097:                             ;   in Loop: Header=BB2_1005 Depth=2
	s_trap 2
	ds_read_b64 v[8:9], v0
	v_add_nc_u32_e32 v11, v11, v48
	s_mov_b32 s23, 0
	v_ashrrev_i32_e32 v48, 31, v11
	.p2align	6
.LBB2_1098:                             ;   Parent Loop BB2_47 Depth=1
                                        ;     Parent Loop BB2_1005 Depth=2
                                        ; =>    This Inner Loop Header: Depth=3
	s_waitcnt lgkmcnt(0)
	v_add_co_u32 v64, vcc_lo, v8, v11
	v_add_co_ci_u32_e64 v65, null, v9, v48, vcc_lo
	v_sub_nc_u32_e32 v10, v10, v84
	v_add_co_u32 v11, s16, v11, v84
	flat_load_ubyte v49, v[64:65] slc
	v_add_co_ci_u32_e64 v48, null, 0, v48, s16
	v_cmp_gt_i32_e32 vcc_lo, 1, v10
	s_or_b32 s23, vcc_lo, s23
	s_waitcnt vmcnt(0) lgkmcnt(0)
	flat_store_byte v[64:65], v49 glc slc
	s_andn2_b32 exec_lo, exec_lo, s23
	s_cbranch_execnz .LBB2_1098
.LBB2_1099:                             ;   in Loop: Header=BB2_1005 Depth=2
	s_or_b32 exec_lo, exec_lo, s17
	v_cmp_lt_i32_e64 s16, 0, v54
	s_and_saveexec_b32 s17, s6
	s_cbranch_execz .LBB2_1076
.LBB2_1100:                             ;   in Loop: Header=BB2_1005 Depth=2
	s_and_saveexec_b32 s23, s29
	s_xor_b32 s23, exec_lo, s23
	s_cbranch_execz .LBB2_1115
; %bb.1101:                             ;   in Loop: Header=BB2_1005 Depth=2
	s_and_saveexec_b32 s61, s11
	s_cbranch_execz .LBB2_1114
; %bb.1102:                             ;   in Loop: Header=BB2_1005 Depth=2
	s_mov_b32 s63, exec_lo
	s_mov_b32 s62, exec_lo
	v_mbcnt_lo_u32_b32 v8, s63, 0
	s_waitcnt vmcnt(0) lgkmcnt(0)
	s_waitcnt_vscnt null, 0x0
	buffer_gl1_inv
	buffer_gl0_inv
	v_cmpx_eq_u32_e32 0, v8
	s_cbranch_execz .LBB2_1104
; %bb.1103:                             ;   in Loop: Header=BB2_1005 Depth=2
	s_bcnt1_i32_b32 s63, s63
	v_mov_b32_e32 v9, v2
	v_mov_b32_e32 v8, s63
	ds_add_u64 v0, v[8:9]
	s_trap 2
.LBB2_1104:                             ;   in Loop: Header=BB2_1005 Depth=2
	s_or_b32 exec_lo, exec_lo, s62
	s_trap 2
	ds_read_b64 v[8:9], v0
	s_waitcnt lgkmcnt(0)
	buffer_gl0_inv
	v_add_co_u32 v12, vcc_lo, v12, v81
	v_add_co_ci_u32_e64 v13, null, 0, v13, vcc_lo
	s_mov_b32 s62, exec_lo
	v_cmpx_lt_u64_e64 v[8:9], v[12:13]
	s_cbranch_execz .LBB2_1113
; %bb.1105:                             ;   in Loop: Header=BB2_1005 Depth=2
	s_mov_b32 s63, 0
	s_mov_b32 s74, 0
                                        ; implicit-def: $sgpr72
                                        ; implicit-def: $sgpr73
	s_inst_prefetch 0x1
	s_branch .LBB2_1107
	.p2align	6
.LBB2_1106:                             ;   in Loop: Header=BB2_1107 Depth=3
	s_or_b32 exec_lo, exec_lo, s76
	s_and_b32 s75, exec_lo, s77
	s_or_b32 s63, s75, s63
	s_andn2_b32 s72, s72, exec_lo
	s_and_b32 s75, s73, exec_lo
	s_or_b32 s72, s72, s75
	s_andn2_b32 exec_lo, exec_lo, s63
	s_cbranch_execz .LBB2_1111
.LBB2_1107:                             ;   Parent Loop BB2_47 Depth=1
                                        ;     Parent Loop BB2_1005 Depth=2
                                        ; =>    This Inner Loop Header: Depth=3
	s_add_i32 s74, s74, 1
	s_cmpk_lg_i32 s74, 0x2710
	s_cselect_b32 s75, -1, 0
	s_and_b32 vcc_lo, exec_lo, s75
	s_cbranch_vccz .LBB2_1109
; %bb.1108:                             ;   in Loop: Header=BB2_1107 Depth=3
	s_mov_b32 s77, -1
	s_or_b32 s73, s73, exec_lo
	s_and_saveexec_b32 s76, s75
	s_cbranch_execz .LBB2_1106
	s_branch .LBB2_1110
	.p2align	6
.LBB2_1109:                             ;   in Loop: Header=BB2_1107 Depth=3
	s_trap 2
	ds_read_b64 v[8:9], v0
	s_andn2_b32 s75, s75, exec_lo
	s_mov_b32 s74, 0
	s_waitcnt lgkmcnt(0)
	flat_load_dword v8, v[8:9] glc dlc
	s_waitcnt vmcnt(0) lgkmcnt(0)
	buffer_gl1_inv
	buffer_gl0_inv
	v_cmp_eq_u32_e32 vcc_lo, 0, v8
	s_and_b32 s76, vcc_lo, exec_lo
	s_or_b32 s75, s75, s76
	s_mov_b32 s77, -1
	s_or_b32 s73, s73, exec_lo
	s_and_saveexec_b32 s76, s75
	s_cbranch_execz .LBB2_1106
.LBB2_1110:                             ;   in Loop: Header=BB2_1107 Depth=3
	s_sleep 1
	s_trap 2
	ds_read_b64 v[8:9], v0
	s_waitcnt lgkmcnt(0)
	buffer_gl0_inv
	s_andn2_b32 s73, s73, exec_lo
	v_cmp_ge_u64_e32 vcc_lo, v[8:9], v[12:13]
	s_orn2_b32 s77, vcc_lo, exec_lo
	s_branch .LBB2_1106
.LBB2_1111:                             ;   in Loop: Header=BB2_1005 Depth=2
	s_inst_prefetch 0x2
	s_or_b32 exec_lo, exec_lo, s63
	s_and_saveexec_b32 s63, s72
	s_xor_b32 s63, exec_lo, s63
	s_cbranch_execz .LBB2_1113
; %bb.1112:                             ;   in Loop: Header=BB2_1005 Depth=2
	ds_write_b32 v0, v86
	s_trap 2
.LBB2_1113:                             ;   in Loop: Header=BB2_1005 Depth=2
	s_or_b32 exec_lo, exec_lo, s62
	;;#ASMSTART
	s_wakeup
	;;#ASMEND
.LBB2_1114:                             ;   in Loop: Header=BB2_1005 Depth=2
	s_or_b32 exec_lo, exec_lo, s61
.LBB2_1115:                             ;   in Loop: Header=BB2_1005 Depth=2
	s_andn2_saveexec_b32 s23, s23
	s_cbranch_execz .LBB2_1117
; %bb.1116:                             ;   in Loop: Header=BB2_1005 Depth=2
	s_waitcnt vmcnt(0) lgkmcnt(0)
	s_waitcnt_vscnt null, 0x0
	buffer_gl1_inv
	buffer_gl0_inv
	s_barrier
.LBB2_1117:                             ;   in Loop: Header=BB2_1005 Depth=2
	s_or_b32 exec_lo, exec_lo, s23
	s_or_b32 exec_lo, exec_lo, s17
	s_and_saveexec_b32 s17, s15
	s_xor_b32 s17, exec_lo, s17
	s_cbranch_execnz .LBB2_1077
.LBB2_1118:                             ;   in Loop: Header=BB2_1005 Depth=2
	s_andn2_saveexec_b32 s16, s17
	s_cbranch_execz .LBB2_1137
.LBB2_1119:                             ;   in Loop: Header=BB2_1005 Depth=2
	s_and_saveexec_b32 s17, s29
	s_xor_b32 s17, exec_lo, s17
	s_cbranch_execz .LBB2_1134
; %bb.1120:                             ;   in Loop: Header=BB2_1005 Depth=2
	s_and_saveexec_b32 s23, s11
	s_cbranch_execz .LBB2_1133
; %bb.1121:                             ;   in Loop: Header=BB2_1005 Depth=2
	s_mov_b32 s62, exec_lo
	s_mov_b32 s61, exec_lo
	v_mbcnt_lo_u32_b32 v8, s62, 0
	;;#ASMSTART
	s_waitcnt lgkmcnt(0) vmcnt(0)
	;;#ASMEND
	v_cmpx_eq_u32_e32 0, v8
	s_cbranch_execz .LBB2_1123
; %bb.1122:                             ;   in Loop: Header=BB2_1005 Depth=2
	s_bcnt1_i32_b32 s62, s62
	v_mov_b32_e32 v9, v2
	v_mov_b32_e32 v8, s62
	s_waitcnt vmcnt(0) lgkmcnt(0)
	s_waitcnt_vscnt null, 0x0
	ds_add_u64 v0, v[8:9]
	s_trap 2
.LBB2_1123:                             ;   in Loop: Header=BB2_1005 Depth=2
	s_or_b32 exec_lo, exec_lo, s61
	s_trap 2
	ds_read_b64 v[8:9], v0
	s_waitcnt vmcnt(0) lgkmcnt(0)
	buffer_gl0_inv
	v_add_co_u32 v12, vcc_lo, v12, v81
	v_add_co_ci_u32_e64 v13, null, 0, v13, vcc_lo
	s_mov_b32 s61, exec_lo
	v_cmpx_lt_u64_e64 v[8:9], v[12:13]
	s_cbranch_execz .LBB2_1132
; %bb.1124:                             ;   in Loop: Header=BB2_1005 Depth=2
	s_mov_b32 s62, 0
	s_mov_b32 s73, 0
                                        ; implicit-def: $sgpr63
                                        ; implicit-def: $sgpr72
	s_inst_prefetch 0x1
	s_branch .LBB2_1126
	.p2align	6
.LBB2_1125:                             ;   in Loop: Header=BB2_1126 Depth=3
	s_or_b32 exec_lo, exec_lo, s75
	s_and_b32 s74, exec_lo, s76
	s_or_b32 s62, s74, s62
	s_andn2_b32 s63, s63, exec_lo
	s_and_b32 s74, s72, exec_lo
	s_or_b32 s63, s63, s74
	s_andn2_b32 exec_lo, exec_lo, s62
	s_cbranch_execz .LBB2_1130
.LBB2_1126:                             ;   Parent Loop BB2_47 Depth=1
                                        ;     Parent Loop BB2_1005 Depth=2
                                        ; =>    This Inner Loop Header: Depth=3
	s_add_i32 s73, s73, 1
	s_cmpk_lg_i32 s73, 0x2710
	s_cselect_b32 s74, -1, 0
	s_and_b32 vcc_lo, exec_lo, s74
	s_cbranch_vccz .LBB2_1128
; %bb.1127:                             ;   in Loop: Header=BB2_1126 Depth=3
	s_mov_b32 s76, -1
	s_or_b32 s72, s72, exec_lo
	s_and_saveexec_b32 s75, s74
	s_cbranch_execz .LBB2_1125
	s_branch .LBB2_1129
	.p2align	6
.LBB2_1128:                             ;   in Loop: Header=BB2_1126 Depth=3
	s_trap 2
	ds_read_b64 v[8:9], v0
	s_andn2_b32 s74, s74, exec_lo
	s_mov_b32 s73, 0
	s_waitcnt lgkmcnt(0)
	s_waitcnt_vscnt null, 0x0
	flat_load_dword v8, v[8:9] glc dlc
	s_waitcnt vmcnt(0) lgkmcnt(0)
	buffer_gl1_inv
	buffer_gl0_inv
	v_cmp_eq_u32_e32 vcc_lo, 0, v8
	s_and_b32 s75, vcc_lo, exec_lo
	s_or_b32 s74, s74, s75
	s_mov_b32 s76, -1
	s_or_b32 s72, s72, exec_lo
	s_and_saveexec_b32 s75, s74
	s_cbranch_execz .LBB2_1125
.LBB2_1129:                             ;   in Loop: Header=BB2_1126 Depth=3
	s_sleep 1
	s_trap 2
	ds_read_b64 v[8:9], v0
	s_waitcnt lgkmcnt(0)
	buffer_gl0_inv
	s_andn2_b32 s72, s72, exec_lo
	v_cmp_ge_u64_e32 vcc_lo, v[8:9], v[12:13]
	s_orn2_b32 s76, vcc_lo, exec_lo
	s_branch .LBB2_1125
.LBB2_1130:                             ;   in Loop: Header=BB2_1005 Depth=2
	s_inst_prefetch 0x2
	s_or_b32 exec_lo, exec_lo, s62
	s_and_saveexec_b32 s62, s63
	s_xor_b32 s62, exec_lo, s62
	s_cbranch_execz .LBB2_1132
; %bb.1131:                             ;   in Loop: Header=BB2_1005 Depth=2
	ds_write_b32 v0, v86
	s_trap 2
.LBB2_1132:                             ;   in Loop: Header=BB2_1005 Depth=2
	s_or_b32 exec_lo, exec_lo, s61
	;;#ASMSTART
	s_wakeup
	;;#ASMEND
.LBB2_1133:                             ;   in Loop: Header=BB2_1005 Depth=2
	s_or_b32 exec_lo, exec_lo, s23
.LBB2_1134:                             ;   in Loop: Header=BB2_1005 Depth=2
	s_andn2_saveexec_b32 s17, s17
	s_cbranch_execz .LBB2_1136
; %bb.1135:                             ;   in Loop: Header=BB2_1005 Depth=2
	;;#ASMSTART
	s_waitcnt lgkmcnt(0) vmcnt(0)
	;;#ASMEND
	s_barrier
.LBB2_1136:                             ;   in Loop: Header=BB2_1005 Depth=2
	s_or_b32 exec_lo, exec_lo, s17
.LBB2_1137:                             ;   in Loop: Header=BB2_1005 Depth=2
	s_or_b32 exec_lo, exec_lo, s16
	v_and_b32_e32 v8, 32, v71
	s_mov_b32 s16, exec_lo
	v_cmpx_ne_u32_e32 0, v8
	s_cbranch_execz .LBB2_1004
; %bb.1138:                             ;   in Loop: Header=BB2_1005 Depth=2
	v_add_co_u32 v38, vcc_lo, v38, 2
	v_add_co_ci_u32_e64 v39, null, 0, v39, vcc_lo
	s_waitcnt vmcnt(0) lgkmcnt(0)
	s_waitcnt_vscnt null, 0x0
	flat_store_dwordx2 v[20:21], v[38:39]
	s_branch .LBB2_1004
.LBB2_1139:                             ;   in Loop: Header=BB2_47 Depth=1
	s_or_b32 exec_lo, exec_lo, s19
.LBB2_1140:                             ;   in Loop: Header=BB2_47 Depth=1
	s_or_b32 exec_lo, exec_lo, s18
	s_mov_b32 s17, exec_lo
	v_cmpx_gt_i32_e32 2, v10
	s_cbranch_execz .LBB2_46
; %bb.1141:                             ;   in Loop: Header=BB2_47 Depth=1
	v_cmp_eq_u32_e64 s19, 0, v10
	s_mov_b32 s18, 0
	s_branch .LBB2_1143
.LBB2_1142:                             ;   in Loop: Header=BB2_1143 Depth=2
	s_or_b32 exec_lo, exec_lo, s16
	v_add_nc_u32_e32 v51, v50, v51
	s_mov_b32 s19, 0
	s_andn2_b32 exec_lo, exec_lo, s18
	s_cbranch_execz .LBB2_45
.LBB2_1143:                             ;   Parent Loop BB2_47 Depth=1
                                        ; =>  This Loop Header: Depth=2
                                        ;       Child Loop BB2_1149 Depth 3
                                        ;       Child Loop BB2_1173 Depth 3
	;; [unrolled: 1-line block ×3, first 2 shown]
	v_and_b32_e32 v8, 4, v71
	s_mov_b32 s21, exec_lo
	v_cmpx_ne_u32_e32 0, v8
	s_cbranch_execz .LBB2_1165
; %bb.1144:                             ;   in Loop: Header=BB2_1143 Depth=2
	v_add_co_u32 v8, vcc_lo, v38, 2
	v_add_co_ci_u32_e64 v9, null, 0, v39, vcc_lo
	s_mov_b32 s22, exec_lo
	s_waitcnt vmcnt(0) lgkmcnt(1)
	v_cmpx_lt_u64_e64 v[26:27], v[8:9]
	s_cbranch_execz .LBB2_1156
; %bb.1145:                             ;   in Loop: Header=BB2_1143 Depth=2
	v_and_b32_e32 v10, 64, v71
	s_mov_b32 s23, 0
	s_mov_b32 s72, 0
                                        ; implicit-def: $sgpr61
                                        ; implicit-def: $sgpr62
                                        ; implicit-def: $sgpr63
	v_cmp_eq_u32_e32 vcc_lo, 0, v10
	s_branch .LBB2_1149
.LBB2_1146:                             ;   in Loop: Header=BB2_1149 Depth=3
	s_waitcnt vmcnt(0) lgkmcnt(0)
	v_cmp_ge_u64_e64 s16, v[26:27], v[8:9]
	s_or_b32 s75, s75, exec_lo
	s_orn2_b32 s74, s16, exec_lo
.LBB2_1147:                             ;   in Loop: Header=BB2_1149 Depth=3
	s_or_b32 exec_lo, exec_lo, s77
	s_andn2_b32 s16, s63, exec_lo
	s_and_b32 s63, s75, exec_lo
	s_andn2_b32 s62, s62, exec_lo
	s_and_b32 s74, s74, exec_lo
	s_or_b32 s63, s16, s63
	s_or_b32 s62, s62, s74
.LBB2_1148:                             ;   in Loop: Header=BB2_1149 Depth=3
	s_or_b32 exec_lo, exec_lo, s73
	s_and_b32 s16, exec_lo, s62
	s_or_b32 s23, s16, s23
	s_andn2_b32 s16, s61, exec_lo
	s_and_b32 s61, s63, exec_lo
	s_or_b32 s61, s16, s61
	s_andn2_b32 exec_lo, exec_lo, s23
	s_cbranch_execz .LBB2_1153
.LBB2_1149:                             ;   Parent Loop BB2_47 Depth=1
                                        ;     Parent Loop BB2_1143 Depth=2
                                        ; =>    This Inner Loop Header: Depth=3
	s_sleep 1
	s_waitcnt vmcnt(0) lgkmcnt(0)
	flat_load_dwordx2 v[26:27], v[20:21] glc dlc
	s_or_b32 s63, s63, exec_lo
	s_or_b32 s62, s62, exec_lo
                                        ; implicit-def: $vgpr10
	s_and_saveexec_b32 s73, vcc_lo
	s_cbranch_execz .LBB2_1148
; %bb.1150:                             ;   in Loop: Header=BB2_1149 Depth=3
	s_cmpk_lt_i32 s72, 0x270f
	s_mov_b32 s74, -1
	s_cselect_b32 s76, -1, 0
	s_cmpk_gt_i32 s72, 0x270e
	s_cbranch_scc0 .LBB2_1152
; %bb.1151:                             ;   in Loop: Header=BB2_1149 Depth=3
	s_trap 2
	ds_read_b64 v[10:11], v0
	s_andn2_b32 s72, s76, exec_lo
	s_mov_b32 s75, 0
	s_waitcnt vmcnt(0) lgkmcnt(0)
	s_waitcnt_vscnt null, 0x0
	flat_load_dword v10, v[10:11] glc dlc
	s_waitcnt vmcnt(0) lgkmcnt(0)
	buffer_gl1_inv
	buffer_gl0_inv
	v_cmp_eq_u32_e64 s16, 0, v10
	s_and_b32 s16, s16, exec_lo
	s_or_b32 s76, s72, s16
	s_mov_b32 s72, 0
	s_and_saveexec_b32 s77, s76
	s_cbranch_execz .LBB2_1147
	s_branch .LBB2_1146
.LBB2_1152:                             ;   in Loop: Header=BB2_1149 Depth=3
	s_add_i32 s72, s72, 1
	s_mov_b32 s75, -1
                                        ; implicit-def: $vgpr10
	s_and_saveexec_b32 s77, s76
	s_cbranch_execz .LBB2_1147
	s_branch .LBB2_1146
.LBB2_1153:                             ;   in Loop: Header=BB2_1143 Depth=2
	s_or_b32 exec_lo, exec_lo, s23
	s_xor_b32 s16, s61, -1
	s_and_saveexec_b32 s23, s16
	s_xor_b32 s16, exec_lo, s23
	s_cbranch_execz .LBB2_1155
; %bb.1154:                             ;   in Loop: Header=BB2_1143 Depth=2
	v_or_b32_e32 v71, 64, v71
	s_waitcnt vmcnt(0) lgkmcnt(0)
	s_waitcnt_vscnt null, 0x0
	ds_write_b32 v0, v10
	s_trap 2
.LBB2_1155:                             ;   in Loop: Header=BB2_1143 Depth=2
	s_or_b32 exec_lo, exec_lo, s16
.LBB2_1156:                             ;   in Loop: Header=BB2_1143 Depth=2
	s_or_b32 exec_lo, exec_lo, s22
	v_and_b32_e32 v10, 0x100, v71
	v_and_b32_e32 v48, 7, v38
	s_mov_b32 s16, -1
	;;#ASMSTART
	s_wakeup
	;;#ASMEND
	v_cmp_ne_u32_e32 vcc_lo, 0, v10
                                        ; implicit-def: $vgpr10_vgpr11
	s_and_saveexec_b32 s22, vcc_lo
	s_cbranch_execz .LBB2_1160
; %bb.1157:                             ;   in Loop: Header=BB2_1143 Depth=2
	v_mad_u64_u32 v[38:39], null, v48, 24, v[6:7]
	flat_load_dword v10, v[38:39]
	s_waitcnt vmcnt(0) lgkmcnt(0)
	v_cmp_eq_u32_e64 s16, 1, v10
	v_cmp_ne_u32_e32 vcc_lo, 1, v10
                                        ; implicit-def: $vgpr10_vgpr11
	s_and_saveexec_b32 s23, s16
	s_cbranch_execz .LBB2_1159
; %bb.1158:                             ;   in Loop: Header=BB2_1143 Depth=2
	flat_load_dword v10, v[38:39] offset:4 glc dlc
	s_waitcnt vmcnt(0) lgkmcnt(0)
	v_ashrrev_i32_e32 v11, 31, v10
.LBB2_1159:                             ;   in Loop: Header=BB2_1143 Depth=2
	s_or_b32 exec_lo, exec_lo, s23
	s_orn2_b32 s16, vcc_lo, exec_lo
.LBB2_1160:                             ;   in Loop: Header=BB2_1143 Depth=2
	s_or_b32 exec_lo, exec_lo, s22
	s_and_saveexec_b32 s22, s16
; %bb.1161:                             ;   in Loop: Header=BB2_1143 Depth=2
	v_mad_i64_i32 v[10:11], null, v48, v80, 0
; %bb.1162:                             ;   in Loop: Header=BB2_1143 Depth=2
	s_or_b32 exec_lo, exec_lo, s22
	v_add_co_u32 v10, vcc_lo, v22, v10
	v_and_b32_e32 v38, 0x2000, v71
	v_add_co_ci_u32_e64 v11, null, v23, v11, vcc_lo
	s_mov_b32 s16, exec_lo
	ds_write_b64 v0, v[10:11] offset:720
	v_cmpx_ne_u32_e32 0, v38
	s_cbranch_execz .LBB2_1164
; %bb.1163:                             ;   in Loop: Header=BB2_1143 Depth=2
	ds_read_b64 v[10:11], v0 offset:872
	s_waitcnt lgkmcnt(0)
	v_add_co_u32 v10, vcc_lo, v10, 1
	v_add_co_ci_u32_e64 v11, null, 0, v11, vcc_lo
	ds_write_b64 v0, v[10:11] offset:872
.LBB2_1164:                             ;   in Loop: Header=BB2_1143 Depth=2
	s_or_b32 exec_lo, exec_lo, s16
	v_mov_b32_e32 v39, v9
	v_mov_b32_e32 v38, v8
.LBB2_1165:                             ;   in Loop: Header=BB2_1143 Depth=2
	s_or_b32 exec_lo, exec_lo, s21
	s_xor_b32 s16, s19, -1
	s_and_b32 s16, exec_lo, s16
	s_or_b32 s18, s16, s18
	s_and_saveexec_b32 s16, s6
	s_cbranch_execz .LBB2_1184
; %bb.1166:                             ;   in Loop: Header=BB2_1143 Depth=2
	s_and_saveexec_b32 s19, s29
	s_xor_b32 s19, exec_lo, s19
	s_cbranch_execz .LBB2_1181
; %bb.1167:                             ;   in Loop: Header=BB2_1143 Depth=2
	s_and_saveexec_b32 s21, s11
	s_cbranch_execz .LBB2_1180
; %bb.1168:                             ;   in Loop: Header=BB2_1143 Depth=2
	s_mov_b32 s23, exec_lo
	s_mov_b32 s22, exec_lo
	v_mbcnt_lo_u32_b32 v8, s23, 0
	s_waitcnt vmcnt(0) lgkmcnt(0)
	s_waitcnt_vscnt null, 0x0
	buffer_gl1_inv
	buffer_gl0_inv
	v_cmpx_eq_u32_e32 0, v8
	s_cbranch_execz .LBB2_1170
; %bb.1169:                             ;   in Loop: Header=BB2_1143 Depth=2
	s_bcnt1_i32_b32 s23, s23
	v_mov_b32_e32 v9, v2
	v_mov_b32_e32 v8, s23
	ds_add_u64 v0, v[8:9]
	s_trap 2
.LBB2_1170:                             ;   in Loop: Header=BB2_1143 Depth=2
	s_or_b32 exec_lo, exec_lo, s22
	s_trap 2
	ds_read_b64 v[8:9], v0
	s_waitcnt lgkmcnt(0)
	buffer_gl0_inv
	v_add_co_u32 v12, vcc_lo, v12, v81
	v_add_co_ci_u32_e64 v13, null, 0, v13, vcc_lo
	s_mov_b32 s22, exec_lo
	v_cmpx_lt_u64_e64 v[8:9], v[12:13]
	s_cbranch_execz .LBB2_1179
; %bb.1171:                             ;   in Loop: Header=BB2_1143 Depth=2
	s_mov_b32 s23, 0
	s_mov_b32 s63, 0
                                        ; implicit-def: $sgpr61
                                        ; implicit-def: $sgpr62
	s_inst_prefetch 0x1
	s_branch .LBB2_1173
	.p2align	6
.LBB2_1172:                             ;   in Loop: Header=BB2_1173 Depth=3
	s_or_b32 exec_lo, exec_lo, s73
	s_and_b32 s72, exec_lo, s74
	s_or_b32 s23, s72, s23
	s_andn2_b32 s61, s61, exec_lo
	s_and_b32 s72, s62, exec_lo
	s_or_b32 s61, s61, s72
	s_andn2_b32 exec_lo, exec_lo, s23
	s_cbranch_execz .LBB2_1177
.LBB2_1173:                             ;   Parent Loop BB2_47 Depth=1
                                        ;     Parent Loop BB2_1143 Depth=2
                                        ; =>    This Inner Loop Header: Depth=3
	s_add_i32 s63, s63, 1
	s_cmpk_lg_i32 s63, 0x2710
	s_cselect_b32 s72, -1, 0
	s_and_b32 vcc_lo, exec_lo, s72
	s_cbranch_vccz .LBB2_1175
; %bb.1174:                             ;   in Loop: Header=BB2_1173 Depth=3
	s_mov_b32 s74, -1
	s_or_b32 s62, s62, exec_lo
	s_and_saveexec_b32 s73, s72
	s_cbranch_execz .LBB2_1172
	s_branch .LBB2_1176
	.p2align	6
.LBB2_1175:                             ;   in Loop: Header=BB2_1173 Depth=3
	s_trap 2
	ds_read_b64 v[8:9], v0
	s_andn2_b32 s72, s72, exec_lo
	s_mov_b32 s63, 0
	s_waitcnt lgkmcnt(0)
	flat_load_dword v8, v[8:9] glc dlc
	s_waitcnt vmcnt(0) lgkmcnt(0)
	buffer_gl1_inv
	buffer_gl0_inv
	v_cmp_eq_u32_e32 vcc_lo, 0, v8
	s_and_b32 s73, vcc_lo, exec_lo
	s_or_b32 s72, s72, s73
	s_mov_b32 s74, -1
	s_or_b32 s62, s62, exec_lo
	s_and_saveexec_b32 s73, s72
	s_cbranch_execz .LBB2_1172
.LBB2_1176:                             ;   in Loop: Header=BB2_1173 Depth=3
	s_sleep 1
	s_trap 2
	ds_read_b64 v[8:9], v0
	s_waitcnt lgkmcnt(0)
	buffer_gl0_inv
	s_andn2_b32 s62, s62, exec_lo
	v_cmp_ge_u64_e32 vcc_lo, v[8:9], v[12:13]
	s_orn2_b32 s74, vcc_lo, exec_lo
	s_branch .LBB2_1172
.LBB2_1177:                             ;   in Loop: Header=BB2_1143 Depth=2
	s_inst_prefetch 0x2
	s_or_b32 exec_lo, exec_lo, s23
	s_and_saveexec_b32 s23, s61
	s_xor_b32 s23, exec_lo, s23
	s_cbranch_execz .LBB2_1179
; %bb.1178:                             ;   in Loop: Header=BB2_1143 Depth=2
	ds_write_b32 v0, v86
	s_trap 2
.LBB2_1179:                             ;   in Loop: Header=BB2_1143 Depth=2
	s_or_b32 exec_lo, exec_lo, s22
	;;#ASMSTART
	s_wakeup
	;;#ASMEND
.LBB2_1180:                             ;   in Loop: Header=BB2_1143 Depth=2
	s_or_b32 exec_lo, exec_lo, s21
.LBB2_1181:                             ;   in Loop: Header=BB2_1143 Depth=2
	s_andn2_saveexec_b32 s19, s19
	s_cbranch_execz .LBB2_1183
; %bb.1182:                             ;   in Loop: Header=BB2_1143 Depth=2
	s_waitcnt vmcnt(0) lgkmcnt(0)
	s_waitcnt_vscnt null, 0x0
	buffer_gl1_inv
	buffer_gl0_inv
	s_barrier
.LBB2_1183:                             ;   in Loop: Header=BB2_1143 Depth=2
	s_or_b32 exec_lo, exec_lo, s19
.LBB2_1184:                             ;   in Loop: Header=BB2_1143 Depth=2
	s_or_b32 exec_lo, exec_lo, s16
	v_sub_nc_u32_e32 v8, v3, v51
	v_min_i32_e32 v50, v50, v8
	s_and_saveexec_b32 s16, s15
	s_xor_b32 s19, exec_lo, s16
	s_cbranch_execz .LBB2_1188
; %bb.1185:                             ;   in Loop: Header=BB2_1143 Depth=2
	s_trap 2
	ds_read_b32 v8, v0
	v_cmp_lt_i32_e32 vcc_lo, 0, v50
	s_waitcnt lgkmcnt(0)
	v_readfirstlane_b32 s16, v8
	v_and_b32_e32 v8, 16, v71
	s_cmp_eq_u32 s16, 0
	v_cmp_ne_u32_e64 s16, 0, v8
	s_cselect_b32 s21, -1, 0
	s_and_b32 s21, vcc_lo, s21
	s_and_b32 s21, s16, s21
	s_and_saveexec_b32 s16, s21
	s_cbranch_execz .LBB2_1187
; %bb.1186:                             ;   in Loop: Header=BB2_1143 Depth=2
	s_waitcnt vmcnt(0)
	s_waitcnt_vscnt null, 0x0
	buffer_gl1_inv
	buffer_gl0_inv
.LBB2_1187:                             ;   in Loop: Header=BB2_1143 Depth=2
	s_or_b32 exec_lo, exec_lo, s16
.LBB2_1188:                             ;   in Loop: Header=BB2_1143 Depth=2
	s_andn2_saveexec_b32 s16, s19
	s_cbranch_execz .LBB2_1207
; %bb.1189:                             ;   in Loop: Header=BB2_1143 Depth=2
	s_and_saveexec_b32 s19, s29
	s_xor_b32 s19, exec_lo, s19
	s_cbranch_execz .LBB2_1204
; %bb.1190:                             ;   in Loop: Header=BB2_1143 Depth=2
	s_and_saveexec_b32 s21, s11
	s_cbranch_execz .LBB2_1203
; %bb.1191:                             ;   in Loop: Header=BB2_1143 Depth=2
	s_mov_b32 s23, exec_lo
	s_mov_b32 s22, exec_lo
	v_mbcnt_lo_u32_b32 v8, s23, 0
	;;#ASMSTART
	s_waitcnt lgkmcnt(0) vmcnt(0)
	;;#ASMEND
	v_cmpx_eq_u32_e32 0, v8
	s_cbranch_execz .LBB2_1193
; %bb.1192:                             ;   in Loop: Header=BB2_1143 Depth=2
	s_bcnt1_i32_b32 s23, s23
	v_mov_b32_e32 v9, v2
	v_mov_b32_e32 v8, s23
	s_waitcnt vmcnt(0) lgkmcnt(0)
	s_waitcnt_vscnt null, 0x0
	ds_add_u64 v0, v[8:9]
	s_trap 2
.LBB2_1193:                             ;   in Loop: Header=BB2_1143 Depth=2
	s_or_b32 exec_lo, exec_lo, s22
	s_trap 2
	ds_read_b64 v[8:9], v0
	s_waitcnt vmcnt(0) lgkmcnt(0)
	buffer_gl0_inv
	v_add_co_u32 v12, vcc_lo, v12, v81
	v_add_co_ci_u32_e64 v13, null, 0, v13, vcc_lo
	s_mov_b32 s22, exec_lo
	v_cmpx_lt_u64_e64 v[8:9], v[12:13]
	s_cbranch_execz .LBB2_1202
; %bb.1194:                             ;   in Loop: Header=BB2_1143 Depth=2
	s_mov_b32 s23, 0
	s_mov_b32 s63, 0
                                        ; implicit-def: $sgpr61
                                        ; implicit-def: $sgpr62
	s_inst_prefetch 0x1
	s_branch .LBB2_1196
	.p2align	6
.LBB2_1195:                             ;   in Loop: Header=BB2_1196 Depth=3
	s_or_b32 exec_lo, exec_lo, s73
	s_and_b32 s72, exec_lo, s74
	s_or_b32 s23, s72, s23
	s_andn2_b32 s61, s61, exec_lo
	s_and_b32 s72, s62, exec_lo
	s_or_b32 s61, s61, s72
	s_andn2_b32 exec_lo, exec_lo, s23
	s_cbranch_execz .LBB2_1200
.LBB2_1196:                             ;   Parent Loop BB2_47 Depth=1
                                        ;     Parent Loop BB2_1143 Depth=2
                                        ; =>    This Inner Loop Header: Depth=3
	s_add_i32 s63, s63, 1
	s_cmpk_lg_i32 s63, 0x2710
	s_cselect_b32 s72, -1, 0
	s_and_b32 vcc_lo, exec_lo, s72
	s_cbranch_vccz .LBB2_1198
; %bb.1197:                             ;   in Loop: Header=BB2_1196 Depth=3
	s_mov_b32 s74, -1
	s_or_b32 s62, s62, exec_lo
	s_and_saveexec_b32 s73, s72
	s_cbranch_execz .LBB2_1195
	s_branch .LBB2_1199
	.p2align	6
.LBB2_1198:                             ;   in Loop: Header=BB2_1196 Depth=3
	s_trap 2
	ds_read_b64 v[8:9], v0
	s_andn2_b32 s72, s72, exec_lo
	s_mov_b32 s63, 0
	s_waitcnt lgkmcnt(0)
	s_waitcnt_vscnt null, 0x0
	flat_load_dword v8, v[8:9] glc dlc
	s_waitcnt vmcnt(0) lgkmcnt(0)
	buffer_gl1_inv
	buffer_gl0_inv
	v_cmp_eq_u32_e32 vcc_lo, 0, v8
	s_and_b32 s73, vcc_lo, exec_lo
	s_or_b32 s72, s72, s73
	s_mov_b32 s74, -1
	s_or_b32 s62, s62, exec_lo
	s_and_saveexec_b32 s73, s72
	s_cbranch_execz .LBB2_1195
.LBB2_1199:                             ;   in Loop: Header=BB2_1196 Depth=3
	s_sleep 1
	s_trap 2
	ds_read_b64 v[8:9], v0
	s_waitcnt lgkmcnt(0)
	buffer_gl0_inv
	s_andn2_b32 s62, s62, exec_lo
	v_cmp_ge_u64_e32 vcc_lo, v[8:9], v[12:13]
	s_orn2_b32 s74, vcc_lo, exec_lo
	s_branch .LBB2_1195
.LBB2_1200:                             ;   in Loop: Header=BB2_1143 Depth=2
	s_inst_prefetch 0x2
	s_or_b32 exec_lo, exec_lo, s23
	s_and_saveexec_b32 s23, s61
	s_xor_b32 s23, exec_lo, s23
	s_cbranch_execz .LBB2_1202
; %bb.1201:                             ;   in Loop: Header=BB2_1143 Depth=2
	ds_write_b32 v0, v86
	s_trap 2
.LBB2_1202:                             ;   in Loop: Header=BB2_1143 Depth=2
	s_or_b32 exec_lo, exec_lo, s22
	;;#ASMSTART
	s_wakeup
	;;#ASMEND
.LBB2_1203:                             ;   in Loop: Header=BB2_1143 Depth=2
	s_or_b32 exec_lo, exec_lo, s21
.LBB2_1204:                             ;   in Loop: Header=BB2_1143 Depth=2
	s_andn2_saveexec_b32 s19, s19
	s_cbranch_execz .LBB2_1206
; %bb.1205:                             ;   in Loop: Header=BB2_1143 Depth=2
	;;#ASMSTART
	s_waitcnt lgkmcnt(0) vmcnt(0)
	;;#ASMEND
	s_barrier
.LBB2_1206:                             ;   in Loop: Header=BB2_1143 Depth=2
	s_or_b32 exec_lo, exec_lo, s19
.LBB2_1207:                             ;   in Loop: Header=BB2_1143 Depth=2
	s_or_b32 exec_lo, exec_lo, s16
	v_and_b32_e32 v8, 32, v71
	s_mov_b32 s16, exec_lo
	v_cmpx_ne_u32_e32 0, v8
	s_cbranch_execz .LBB2_1142
; %bb.1208:                             ;   in Loop: Header=BB2_1143 Depth=2
	v_add_co_u32 v38, vcc_lo, v38, 2
	v_add_co_ci_u32_e64 v39, null, 0, v39, vcc_lo
	s_waitcnt vmcnt(0) lgkmcnt(0)
	s_waitcnt_vscnt null, 0x0
	flat_store_dwordx2 v[20:21], v[38:39]
	s_branch .LBB2_1142
.LBB2_1209:
	s_or_b32 exec_lo, exec_lo, s27
.LBB2_1210:
	s_or_b32 exec_lo, exec_lo, s26
	v_and_b32_e32 v0, 0x800, v71
	s_mov_b32 s5, exec_lo
	v_cmpx_eq_u32_e32 0, v0
	s_cbranch_execz .LBB2_1243
; %bb.1211:
	v_and_b32_e32 v0, 48, v71
	s_mov_b32 s4, exec_lo
	v_cmpx_ne_u32_e32 0, v0
	s_cbranch_execz .LBB2_1213
; %bb.1212:
	flat_store_dwordx2 v[18:19], v[38:39] offset:104
.LBB2_1213:
	s_or_b32 exec_lo, exec_lo, s4
	v_and_b32_e32 v0, 0x88, v71
	s_mov_b32 s6, exec_lo
	v_cmpx_eq_u32_e32 0x88, v0
	s_cbranch_execz .LBB2_1223
; %bb.1214:
	v_add_nc_u32_e32 v0, 6, v38
	s_mov_b32 s7, 0
	v_and_b32_e32 v0, 7, v0
	v_mad_u64_u32 v[2:3], null, v0, 24, v[6:7]
	v_and_b32_e32 v0, 64, v71
	v_cmp_eq_u32_e64 s4, 0, v0
	flat_load_dwordx2 v[4:5], v[2:3] offset:8 glc dlc
	s_waitcnt vmcnt(0) lgkmcnt(0)
	v_cmp_ne_u64_e32 vcc_lo, -1, v[4:5]
	s_and_b32 s4, vcc_lo, s4
	s_and_b32 exec_lo, exec_lo, s4
	s_cbranch_execz .LBB2_1223
; %bb.1215:
	s_mov_b32 s11, 0
                                        ; implicit-def: $sgpr4
                                        ; implicit-def: $sgpr10
	s_inst_prefetch 0x1
	s_branch .LBB2_1218
	.p2align	6
.LBB2_1216:                             ;   in Loop: Header=BB2_1218 Depth=1
	flat_load_dwordx2 v[4:5], v[2:3] offset:8 glc dlc
	s_waitcnt vmcnt(0)
	s_andn2_b32 s10, s10, exec_lo
	s_waitcnt lgkmcnt(0)
	v_cmp_eq_u64_e32 vcc_lo, -1, v[4:5]
	s_orn2_b32 s13, vcc_lo, exec_lo
.LBB2_1217:                             ;   in Loop: Header=BB2_1218 Depth=1
	s_or_b32 exec_lo, exec_lo, s14
	s_and_b32 s12, exec_lo, s13
	s_or_b32 s7, s12, s7
	s_andn2_b32 s4, s4, exec_lo
	s_and_b32 s12, s10, exec_lo
	s_or_b32 s4, s4, s12
	s_andn2_b32 exec_lo, exec_lo, s7
	s_cbranch_execz .LBB2_1221
.LBB2_1218:                             ; =>This Inner Loop Header: Depth=1
	s_cmpk_lt_i32 s11, 0x270f
	s_cselect_b32 s12, -1, 0
	s_and_b32 vcc_lo, exec_lo, s12
	s_cbranch_vccnz .LBB2_1220
; %bb.1219:                             ;   in Loop: Header=BB2_1218 Depth=1
	s_trap 2
	ds_read_b64 v[4:5], v0
	s_andn2_b32 s12, s12, exec_lo
	s_mov_b32 s11, 0
	s_waitcnt lgkmcnt(0)
	s_waitcnt_vscnt null, 0x0
	flat_load_dword v0, v[4:5] glc dlc
	s_waitcnt vmcnt(0) lgkmcnt(0)
	buffer_gl1_inv
	buffer_gl0_inv
	v_cmp_eq_u32_e32 vcc_lo, 0, v0
	s_and_b32 s13, vcc_lo, exec_lo
	s_or_b32 s12, s12, s13
	s_mov_b32 s13, -1
	s_or_b32 s10, s10, exec_lo
	s_and_saveexec_b32 s14, s12
	s_cbranch_execz .LBB2_1217
	s_branch .LBB2_1216
	.p2align	6
.LBB2_1220:                             ;   in Loop: Header=BB2_1218 Depth=1
	s_add_i32 s11, s11, 1
                                        ; implicit-def: $vgpr0
	s_mov_b32 s13, -1
	s_or_b32 s10, s10, exec_lo
	s_and_saveexec_b32 s14, s12
	s_cbranch_execz .LBB2_1217
	s_branch .LBB2_1216
.LBB2_1221:
	s_inst_prefetch 0x2
	s_or_b32 exec_lo, exec_lo, s7
	s_and_saveexec_b32 s7, s4
	s_xor_b32 s7, exec_lo, s7
	s_cbranch_execz .LBB2_1223
; %bb.1222:
	s_waitcnt_vscnt null, 0x0
	ds_write_b32 v0, v0
	s_trap 2
.LBB2_1223:
	s_or_b32 exec_lo, exec_lo, s6
	v_and_b32_e32 v0, 0x2000, v71
	s_mov_b32 s4, exec_lo
	v_cmpx_ne_u32_e32 0, v0
	s_cbranch_execz .LBB2_1225
; %bb.1224:
	s_trap 2
	ds_read_b64 v[2:3], v0
	s_waitcnt lgkmcnt(0)
	flat_store_dwordx2 v[16:17], v[2:3] offset:16
.LBB2_1225:
	s_or_b32 exec_lo, exec_lo, s4
	v_cmp_ne_u32_e32 vcc_lo, 32, v1
	s_and_b32 exec_lo, exec_lo, vcc_lo
	s_cbranch_execz .LBB2_1243
; %bb.1226:
	s_waitcnt vmcnt(0)
	v_cmp_ne_u32_sdwa s4, v1, v70 src0_sel:DWORD src1_sel:WORD_0
	s_and_saveexec_b32 s6, s4
	s_xor_b32 s4, exec_lo, s6
	s_cbranch_execz .LBB2_1241
; %bb.1227:
	v_and_b32_e32 v0, 31, v31
	s_mov_b32 s6, exec_lo
	v_cmpx_eq_u32_e32 0, v0
	s_cbranch_execz .LBB2_1240
; %bb.1228:
	s_mov_b32 s10, exec_lo
	s_mov_b32 s7, exec_lo
	v_mbcnt_lo_u32_b32 v0, s10, 0
	s_waitcnt lgkmcnt(0)
	s_waitcnt_vscnt null, 0x0
	buffer_gl1_inv
	buffer_gl0_inv
	v_cmpx_eq_u32_e32 0, v0
	s_cbranch_execz .LBB2_1230
; %bb.1229:
	s_bcnt1_i32_b32 s10, s10
	v_mov_b32_e32 v3, 0
	v_mov_b32_e32 v2, s10
	ds_add_u64 v0, v[2:3]
	s_trap 2
.LBB2_1230:
	s_or_b32 exec_lo, exec_lo, s7
	s_trap 2
	ds_read_b64 v[2:3], v0
	s_waitcnt lgkmcnt(0)
	buffer_gl0_inv
	v_lshrrev_b32_e32 v0, 5, v1
	s_mov_b32 s7, exec_lo
	v_add_co_u32 v0, vcc_lo, v12, v0
	v_add_co_ci_u32_e64 v1, null, 0, v13, vcc_lo
	v_cmpx_lt_u64_e64 v[2:3], v[0:1]
	s_cbranch_execz .LBB2_1239
; %bb.1231:
	s_mov_b32 s10, 0
	s_mov_b32 s13, 0
                                        ; implicit-def: $sgpr11
                                        ; implicit-def: $sgpr12
	s_inst_prefetch 0x1
	s_branch .LBB2_1233
	.p2align	6
.LBB2_1232:                             ;   in Loop: Header=BB2_1233 Depth=1
	s_or_b32 exec_lo, exec_lo, s15
	s_and_b32 s14, exec_lo, s16
	s_or_b32 s10, s14, s10
	s_andn2_b32 s11, s11, exec_lo
	s_and_b32 s14, s12, exec_lo
	s_or_b32 s11, s11, s14
	s_andn2_b32 exec_lo, exec_lo, s10
	s_cbranch_execz .LBB2_1237
.LBB2_1233:                             ; =>This Inner Loop Header: Depth=1
	s_add_i32 s13, s13, 1
	s_cmpk_lg_i32 s13, 0x2710
	s_cselect_b32 s14, -1, 0
	s_and_b32 vcc_lo, exec_lo, s14
	s_cbranch_vccz .LBB2_1235
; %bb.1234:                             ;   in Loop: Header=BB2_1233 Depth=1
	s_mov_b32 s16, -1
	s_or_b32 s12, s12, exec_lo
	s_and_saveexec_b32 s15, s14
	s_cbranch_execz .LBB2_1232
	s_branch .LBB2_1236
.LBB2_1235:                             ;   in Loop: Header=BB2_1233 Depth=1
	s_trap 2
	ds_read_b64 v[2:3], v0
	s_andn2_b32 s14, s14, exec_lo
	s_mov_b32 s13, 0
	s_waitcnt lgkmcnt(0)
	flat_load_dword v2, v[2:3] glc dlc
	s_waitcnt vmcnt(0) lgkmcnt(0)
	buffer_gl1_inv
	buffer_gl0_inv
	v_cmp_eq_u32_e32 vcc_lo, 0, v2
	s_and_b32 s15, vcc_lo, exec_lo
	s_or_b32 s14, s14, s15
	s_mov_b32 s16, -1
	s_or_b32 s12, s12, exec_lo
	s_and_saveexec_b32 s15, s14
	s_cbranch_execz .LBB2_1232
.LBB2_1236:                             ;   in Loop: Header=BB2_1233 Depth=1
	s_sleep 1
	s_trap 2
	ds_read_b64 v[2:3], v0
	s_waitcnt lgkmcnt(0)
	buffer_gl0_inv
	s_andn2_b32 s12, s12, exec_lo
	v_cmp_ge_u64_e32 vcc_lo, v[2:3], v[0:1]
	s_orn2_b32 s16, vcc_lo, exec_lo
	s_branch .LBB2_1232
.LBB2_1237:
	s_inst_prefetch 0x2
	s_or_b32 exec_lo, exec_lo, s10
	s_and_saveexec_b32 s10, s11
	s_xor_b32 s10, exec_lo, s10
	s_cbranch_execz .LBB2_1239
; %bb.1238:
	v_mov_b32_e32 v0, 1
	ds_write_b32 v0, v0
	s_trap 2
.LBB2_1239:
	s_or_b32 exec_lo, exec_lo, s7
	;;#ASMSTART
	s_wakeup
	;;#ASMEND
.LBB2_1240:
	s_or_b32 exec_lo, exec_lo, s6
.LBB2_1241:
	s_andn2_saveexec_b32 s4, s4
	s_cbranch_execz .LBB2_1243
; %bb.1242:
	s_waitcnt lgkmcnt(0)
	s_waitcnt_vscnt null, 0x0
	buffer_gl1_inv
	buffer_gl0_inv
	s_barrier
.LBB2_1243:
	s_or_b32 exec_lo, exec_lo, s5
.LBB2_1244:
	s_andn2_saveexec_b32 s25, s24
	s_cbranch_execz .LBB2_1246
; %bb.1245:
	s_getpc_b64 s[4:5]
	s_add_u32 s4, s4, __PRETTY_FUNCTION__._ZN10PrimitivesIh10FuncMinMaxIhE12FanSymmetricILi1EELi0E11ProtoSimpleILi2ELi2ELi0ELi1ELi0ELi0EELi0ELb0ELi0ELi0ELi0EEC2EiiPKiS8_PKvPvmhhhP15ncclDevWorkCollP14ncclDevWorkP2pii@rel32@lo+4
	s_addc_u32 s5, s5, __PRETTY_FUNCTION__._ZN10PrimitivesIh10FuncMinMaxIhE12FanSymmetricILi1EELi0E11ProtoSimpleILi2ELi2ELi0ELi1ELi0ELi0EELi0ELb0ELi0ELi0ELi0EEC2EiiPKiS8_PKvPvmhhhP15ncclDevWorkCollP14ncclDevWorkP2pii@rel32@hi+12
	v_mov_b32_e32 v0, s4
	v_mov_b32_e32 v1, s5
	s_getpc_b64 s[6:7]
	s_add_u32 s6, s6, __assert_fail@rel32@lo+4
	s_addc_u32 s7, s7, __assert_fail@rel32@hi+12
	s_swappc_b64 s[30:31], s[6:7]
	; divergent unreachable
.LBB2_1246:
	s_or_b32 exec_lo, exec_lo, s25
	s_clause 0x2c
	buffer_load_dword v124, off, s[0:3], s33
	buffer_load_dword v123, off, s[0:3], s33 offset:4
	buffer_load_dword v122, off, s[0:3], s33 offset:8
	;; [unrolled: 1-line block ×44, first 2 shown]
	v_readlane_b32 s30, v125, 0
	v_readlane_b32 s31, v125, 1
	s_mov_b32 s32, s33
	s_or_saveexec_b32 s4, -1
	buffer_load_dword v125, off, s[0:3], s33 offset:180 ; 4-byte Folded Reload
	s_mov_b32 exec_lo, s4
	s_mov_b32 s33, s88
	s_waitcnt vmcnt(0) lgkmcnt(0)
	s_setpc_b64 s[30:31]
.Lfunc_end2:
	.size	_ZN12_GLOBAL__N_17runRingIh10FuncMinMaxIhE11ProtoSimpleILi2ELi2ELi0ELi1ELi0ELi0EELi0ELi0ELi1ELi0EEEviiP15ncclDevWorkColl, .Lfunc_end2-_ZN12_GLOBAL__N_17runRingIh10FuncMinMaxIhE11ProtoSimpleILi2ELi2ELi0ELi1ELi0ELi0EELi0ELi0ELi1ELi0EEEviiP15ncclDevWorkColl
                                        ; -- End function
	.set .L_ZN12_GLOBAL__N_17runRingIh10FuncMinMaxIhE11ProtoSimpleILi2ELi2ELi0ELi1ELi0ELi0EELi0ELi0ELi1ELi0EEEviiP15ncclDevWorkColl.num_vgpr, max(126, .L__assert_fail.num_vgpr)
	.set .L_ZN12_GLOBAL__N_17runRingIh10FuncMinMaxIhE11ProtoSimpleILi2ELi2ELi0ELi1ELi0ELi0EELi0ELi0ELi1ELi0EEEviiP15ncclDevWorkColl.num_agpr, max(0, .L__assert_fail.num_agpr)
	.set .L_ZN12_GLOBAL__N_17runRingIh10FuncMinMaxIhE11ProtoSimpleILi2ELi2ELi0ELi1ELi0ELi0EELi0ELi0ELi1ELi0EEEviiP15ncclDevWorkColl.numbered_sgpr, max(89, .L__assert_fail.numbered_sgpr)
	.set .L_ZN12_GLOBAL__N_17runRingIh10FuncMinMaxIhE11ProtoSimpleILi2ELi2ELi0ELi1ELi0ELi0EELi0ELi0ELi1ELi0EEEviiP15ncclDevWorkColl.num_named_barrier, max(0, .L__assert_fail.num_named_barrier)
	.set .L_ZN12_GLOBAL__N_17runRingIh10FuncMinMaxIhE11ProtoSimpleILi2ELi2ELi0ELi1ELi0ELi0EELi0ELi0ELi1ELi0EEEviiP15ncclDevWorkColl.private_seg_size, 192+max(.L__assert_fail.private_seg_size)
	.set .L_ZN12_GLOBAL__N_17runRingIh10FuncMinMaxIhE11ProtoSimpleILi2ELi2ELi0ELi1ELi0ELi0EELi0ELi0ELi1ELi0EEEviiP15ncclDevWorkColl.uses_vcc, or(1, .L__assert_fail.uses_vcc)
	.set .L_ZN12_GLOBAL__N_17runRingIh10FuncMinMaxIhE11ProtoSimpleILi2ELi2ELi0ELi1ELi0ELi0EELi0ELi0ELi1ELi0EEEviiP15ncclDevWorkColl.uses_flat_scratch, or(1, .L__assert_fail.uses_flat_scratch)
	.set .L_ZN12_GLOBAL__N_17runRingIh10FuncMinMaxIhE11ProtoSimpleILi2ELi2ELi0ELi1ELi0ELi0EELi0ELi0ELi1ELi0EEEviiP15ncclDevWorkColl.has_dyn_sized_stack, or(0, .L__assert_fail.has_dyn_sized_stack)
	.set .L_ZN12_GLOBAL__N_17runRingIh10FuncMinMaxIhE11ProtoSimpleILi2ELi2ELi0ELi1ELi0ELi0EELi0ELi0ELi1ELi0EEEviiP15ncclDevWorkColl.has_recursion, or(1, .L__assert_fail.has_recursion)
	.set .L_ZN12_GLOBAL__N_17runRingIh10FuncMinMaxIhE11ProtoSimpleILi2ELi2ELi0ELi1ELi0ELi0EELi0ELi0ELi1ELi0EEEviiP15ncclDevWorkColl.has_indirect_call, or(0, .L__assert_fail.has_indirect_call)
	.section	.AMDGPU.csdata,"",@progbits
; Function info:
; codeLenInByte = 48072
; TotalNumSgprs: 91
; NumVgprs: 126
; ScratchSize: 256
; MemoryBound: 1
	.text
	.p2align	2                               ; -- Begin function _Z49ncclDevFunc_AllReduce_RING_SIMPLE_MinMax_u8_0_0_1v
	.type	_Z49ncclDevFunc_AllReduce_RING_SIMPLE_MinMax_u8_0_0_1v,@function
_Z49ncclDevFunc_AllReduce_RING_SIMPLE_MinMax_u8_0_0_1v: ; @_Z49ncclDevFunc_AllReduce_RING_SIMPLE_MinMax_u8_0_0_1v
; %bb.0:
	s_waitcnt vmcnt(0) expcnt(0) lgkmcnt(0)
	s_mov_b32 s94, s33
	s_mov_b32 s33, s32
	s_or_saveexec_b32 s4, -1
	buffer_store_dword v43, off, s[0:3], s33 offset:16 ; 4-byte Folded Spill
	s_mov_b32 exec_lo, s4
	s_addk_i32 s32, 0x400
	buffer_store_dword v40, off, s[0:3], s33 offset:12 ; 4-byte Folded Spill
	buffer_store_dword v41, off, s[0:3], s33 offset:8 ; 4-byte Folded Spill
	;; [unrolled: 1-line block ×3, first 2 shown]
	buffer_store_dword v125, off, s[0:3], s33 ; 4-byte Folded Spill
	v_writelane_b32 v43, s30, 0
	v_writelane_b32 v43, s31, 1
	s_trap 2
	ds_read_b32 v0, v0
	v_mov_b32_e32 v40, v31
	s_mov_b32 s89, s12
	s_mov_b64 s[90:91], s[8:9]
	s_mov_b32 s4, exec_lo
	v_and_b32_e32 v41, 0x3ff, v40
	s_waitcnt lgkmcnt(0)
	v_cmpx_lt_i32_e64 v41, v0
	s_cbranch_execz .LBB3_5
; %bb.1:
	s_load_dword s5, s[90:91], 0x0
	v_mov_b32_e32 v1, 0
	v_mov_b32_e32 v3, v41
                                        ; implicit-def: $vgpr4
	s_waitcnt lgkmcnt(0)
	s_cmp_lt_u32 s89, s5
	s_cselect_b32 s5, 12, 18
	s_add_u32 s6, s90, s5
	s_addc_u32 s7, s91, 0
	s_mov_b32 s5, 0
	global_load_ushort v1, v1, s[6:7]
	s_trap 2
	ds_read_b32 v2, v0
	s_mov_b32 s6, 0
	s_waitcnt vmcnt(0) lgkmcnt(0)
	v_mul_lo_u32 v2, v2, v1
	s_branch .LBB3_3
	.p2align	6
.LBB3_2:                                ;   in Loop: Header=BB3_3 Depth=1
	s_or_b32 exec_lo, exec_lo, s7
	v_add_nc_u32_e32 v3, v3, v1
	v_add_nc_u32_e32 v4, v4, v2
	v_cmp_ge_i32_e32 vcc_lo, v3, v0
	s_or_b32 s6, vcc_lo, s6
	s_andn2_b32 exec_lo, exec_lo, s6
	s_cbranch_execz .LBB3_5
.LBB3_3:                                ; =>This Inner Loop Header: Depth=1
	ds_read_b32 v5, v4
	s_mov_b32 s7, exec_lo
	s_waitcnt lgkmcnt(0)
	v_and_b32_e32 v5, 0x1000000, v5
	v_cmpx_ne_u32_e32 0, v5
	s_cbranch_execz .LBB3_2
; %bb.4:                                ;   in Loop: Header=BB3_3 Depth=1
	ds_read_b64 v[5:6], v4 offset:104
	s_waitcnt lgkmcnt(0)
	flat_load_ubyte v5, v[5:6]
	v_mov_b32_e32 v6, s5
	s_waitcnt vmcnt(0) lgkmcnt(0)
	v_and_b32_e32 v5, 0xffff, v5
	ds_write_b64 v4, v[5:6] offset:104
	s_branch .LBB3_2
.LBB3_5:
	s_or_b32 exec_lo, exec_lo, s4
	s_waitcnt lgkmcnt(0)
	s_waitcnt_vscnt null, 0x0
	s_barrier
	buffer_gl0_inv
	s_trap 2
	ds_read_b32 v0, v0
	s_waitcnt lgkmcnt(0)
	v_cmp_gt_i32_e32 vcc_lo, 1, v0
	s_cbranch_vccnz .LBB3_13
; %bb.6:
	v_mov_b32_e32 v42, 5
	s_mov_b32 s92, 0
	s_inst_prefetch 0x1
	s_branch .LBB3_8
	.p2align	6
.LBB3_7:                                ;   in Loop: Header=BB3_8 Depth=1
	s_or_b32 exec_lo, exec_lo, s93
	s_trap 2
	ds_read_b32 v0, v0
	s_add_i32 s92, s92, 1
	s_waitcnt lgkmcnt(0)
	v_cmp_lt_i32_e32 vcc_lo, s92, v0
	s_cbranch_vccz .LBB3_13
.LBB3_8:                                ; =>This Inner Loop Header: Depth=1
	s_trap 2
	ds_read_b32 v0, v0
	s_cmp_eq_u32 s92, 0
	s_cbranch_scc1 .LBB3_11
; %bb.9:                                ;   in Loop: Header=BB3_8 Depth=1
	s_trap 2
	s_waitcnt lgkmcnt(0)
	ds_read_b32 v1, v0
	s_waitcnt lgkmcnt(0)
	v_xor_b32_e32 v1, v1, v0
	v_and_b32_e32 v1, 0xff0000, v1
	v_cmp_eq_u32_e32 vcc_lo, 0, v1
	s_cbranch_vccnz .LBB3_11
; %bb.10:                               ;   in Loop: Header=BB3_8 Depth=1
	s_barrier
	buffer_gl0_inv
	ds_read_b32 v0, v0
.LBB3_11:                               ;   in Loop: Header=BB3_8 Depth=1
	s_waitcnt lgkmcnt(0)
	v_lshlrev_b32_sdwa v1, v42, v0 dst_sel:DWORD dst_unused:UNUSED_PAD src0_sel:DWORD src1_sel:BYTE_2
	s_mov_b32 s93, exec_lo
	v_cmpx_lt_u32_e64 v41, v1
	s_cbranch_execz .LBB3_7
; %bb.12:                               ;   in Loop: Header=BB3_8 Depth=1
	s_mov_b64 s[4:5], src_shared_base
	v_mov_b32_e32 v31, v40
	v_mov_b32_e32 v0, v41
	;; [unrolled: 1-line block ×3, first 2 shown]
	s_getpc_b64 s[6:7]
	s_add_u32 s6, s6, _ZN12_GLOBAL__N_17runRingIh10FuncMinMaxIhE11ProtoSimpleILi2ELi2ELi0ELi1ELi0ELi0EELi0ELi0ELi1ELi0EEEviiP15ncclDevWorkColl@rel32@lo+4
	s_addc_u32 s7, s7, _ZN12_GLOBAL__N_17runRingIh10FuncMinMaxIhE11ProtoSimpleILi2ELi2ELi0ELi1ELi0ELi0EELi0ELi0ELi1ELi0EEEviiP15ncclDevWorkColl@rel32@hi+12
	s_mov_b64 s[8:9], s[90:91]
	s_mov_b32 s12, s89
	s_swappc_b64 s[30:31], s[6:7]
	s_branch .LBB3_7
.LBB3_13:
	s_inst_prefetch 0x2
	s_clause 0x3
	buffer_load_dword v125, off, s[0:3], s33
	buffer_load_dword v42, off, s[0:3], s33 offset:4
	buffer_load_dword v41, off, s[0:3], s33 offset:8
	;; [unrolled: 1-line block ×3, first 2 shown]
	v_readlane_b32 s30, v43, 0
	v_readlane_b32 s31, v43, 1
	s_mov_b32 s32, s33
	s_or_saveexec_b32 s4, -1
	buffer_load_dword v43, off, s[0:3], s33 offset:16 ; 4-byte Folded Reload
	s_mov_b32 exec_lo, s4
	s_mov_b32 s33, s94
	s_waitcnt vmcnt(0)
	s_setpc_b64 s[30:31]
.Lfunc_end3:
	.size	_Z49ncclDevFunc_AllReduce_RING_SIMPLE_MinMax_u8_0_0_1v, .Lfunc_end3-_Z49ncclDevFunc_AllReduce_RING_SIMPLE_MinMax_u8_0_0_1v
                                        ; -- End function
	.set .L_Z49ncclDevFunc_AllReduce_RING_SIMPLE_MinMax_u8_0_0_1v.num_vgpr, max(126, .L_ZN12_GLOBAL__N_17runRingIh10FuncMinMaxIhE11ProtoSimpleILi2ELi2ELi0ELi1ELi0ELi0EELi0ELi0ELi1ELi0EEEviiP15ncclDevWorkColl.num_vgpr)
	.set .L_Z49ncclDevFunc_AllReduce_RING_SIMPLE_MinMax_u8_0_0_1v.num_agpr, max(0, .L_ZN12_GLOBAL__N_17runRingIh10FuncMinMaxIhE11ProtoSimpleILi2ELi2ELi0ELi1ELi0ELi0EELi0ELi0ELi1ELi0EEEviiP15ncclDevWorkColl.num_agpr)
	.set .L_Z49ncclDevFunc_AllReduce_RING_SIMPLE_MinMax_u8_0_0_1v.numbered_sgpr, max(95, .L_ZN12_GLOBAL__N_17runRingIh10FuncMinMaxIhE11ProtoSimpleILi2ELi2ELi0ELi1ELi0ELi0EELi0ELi0ELi1ELi0EEEviiP15ncclDevWorkColl.numbered_sgpr)
	.set .L_Z49ncclDevFunc_AllReduce_RING_SIMPLE_MinMax_u8_0_0_1v.num_named_barrier, max(0, .L_ZN12_GLOBAL__N_17runRingIh10FuncMinMaxIhE11ProtoSimpleILi2ELi2ELi0ELi1ELi0ELi0EELi0ELi0ELi1ELi0EEEviiP15ncclDevWorkColl.num_named_barrier)
	.set .L_Z49ncclDevFunc_AllReduce_RING_SIMPLE_MinMax_u8_0_0_1v.private_seg_size, 32+max(.L_ZN12_GLOBAL__N_17runRingIh10FuncMinMaxIhE11ProtoSimpleILi2ELi2ELi0ELi1ELi0ELi0EELi0ELi0ELi1ELi0EEEviiP15ncclDevWorkColl.private_seg_size)
	.set .L_Z49ncclDevFunc_AllReduce_RING_SIMPLE_MinMax_u8_0_0_1v.uses_vcc, or(1, .L_ZN12_GLOBAL__N_17runRingIh10FuncMinMaxIhE11ProtoSimpleILi2ELi2ELi0ELi1ELi0ELi0EELi0ELi0ELi1ELi0EEEviiP15ncclDevWorkColl.uses_vcc)
	.set .L_Z49ncclDevFunc_AllReduce_RING_SIMPLE_MinMax_u8_0_0_1v.uses_flat_scratch, or(0, .L_ZN12_GLOBAL__N_17runRingIh10FuncMinMaxIhE11ProtoSimpleILi2ELi2ELi0ELi1ELi0ELi0EELi0ELi0ELi1ELi0EEEviiP15ncclDevWorkColl.uses_flat_scratch)
	.set .L_Z49ncclDevFunc_AllReduce_RING_SIMPLE_MinMax_u8_0_0_1v.has_dyn_sized_stack, or(0, .L_ZN12_GLOBAL__N_17runRingIh10FuncMinMaxIhE11ProtoSimpleILi2ELi2ELi0ELi1ELi0ELi0EELi0ELi0ELi1ELi0EEEviiP15ncclDevWorkColl.has_dyn_sized_stack)
	.set .L_Z49ncclDevFunc_AllReduce_RING_SIMPLE_MinMax_u8_0_0_1v.has_recursion, or(1, .L_ZN12_GLOBAL__N_17runRingIh10FuncMinMaxIhE11ProtoSimpleILi2ELi2ELi0ELi1ELi0ELi0EELi0ELi0ELi1ELi0EEEviiP15ncclDevWorkColl.has_recursion)
	.set .L_Z49ncclDevFunc_AllReduce_RING_SIMPLE_MinMax_u8_0_0_1v.has_indirect_call, or(0, .L_ZN12_GLOBAL__N_17runRingIh10FuncMinMaxIhE11ProtoSimpleILi2ELi2ELi0ELi1ELi0ELi0EELi0ELi0ELi1ELi0EEEviiP15ncclDevWorkColl.has_indirect_call)
	.section	.AMDGPU.csdata,"",@progbits
; Function info:
; codeLenInByte = 728
; TotalNumSgprs: 97
; NumVgprs: 126
; ScratchSize: 288
; MemoryBound: 0
	.text
	.p2align	2                               ; -- Begin function _ZN12_GLOBAL__N_17runRingIh10FuncMinMaxIhE11ProtoSimpleILi2ELi2ELi0ELi2ELi0ELi0EELi0ELi0ELi2ELi0EEEviiP15ncclDevWorkColl
	.type	_ZN12_GLOBAL__N_17runRingIh10FuncMinMaxIhE11ProtoSimpleILi2ELi2ELi0ELi2ELi0ELi0EELi0ELi0ELi2ELi0EEEviiP15ncclDevWorkColl,@function
_ZN12_GLOBAL__N_17runRingIh10FuncMinMaxIhE11ProtoSimpleILi2ELi2ELi0ELi2ELi0ELi0EELi0ELi0ELi2ELi0EEEviiP15ncclDevWorkColl: ; @_ZN12_GLOBAL__N_17runRingIh10FuncMinMaxIhE11ProtoSimpleILi2ELi2ELi0ELi2ELi0ELi0EELi0ELi0ELi2ELi0EEEviiP15ncclDevWorkColl
; %bb.0:
	s_waitcnt vmcnt(0) expcnt(0) lgkmcnt(0)
	s_mov_b32 s88, s33
	s_mov_b32 s33, s32
	s_or_saveexec_b32 s4, -1
	buffer_store_dword v126, off, s[0:3], s33 offset:184 ; 4-byte Folded Spill
	s_mov_b32 exec_lo, s4
	s_addk_i32 s32, 0x1800
	buffer_store_dword v40, off, s[0:3], s33 offset:180 ; 4-byte Folded Spill
	buffer_store_dword v41, off, s[0:3], s33 offset:176 ; 4-byte Folded Spill
	;; [unrolled: 1-line block ×45, first 2 shown]
	buffer_store_dword v125, off, s[0:3], s33 ; 4-byte Folded Spill
	v_writelane_b32 v126, s30, 0
	v_writelane_b32 v126, s31, 1
	s_trap 2
	flat_load_dword v9, v[2:3]
	ds_read_b32 v6, v0
                                        ; implicit-def: $vgpr14_vgpr15
                                        ; implicit-def: $vgpr24_vgpr25
                                        ; implicit-def: $vgpr4_vgpr5
	s_waitcnt lgkmcnt(0)
	v_readfirstlane_b32 s25, v6
	s_waitcnt vmcnt(0)
	v_cmp_ne_u32_sdwa s4, v6, v9 src0_sel:DWORD src1_sel:BYTE_0
	s_and_saveexec_b32 s5, s4
	s_xor_b32 s4, exec_lo, s5
	s_cbranch_execz .LBB4_6
; %bb.1:
	v_not_b32_sdwa v8, v9 dst_sel:DWORD dst_unused:UNUSED_PAD src0_sel:BYTE_0
	v_cmp_ne_u32_sdwa s5, v6, v9 src0_sel:DWORD src1_sel:BYTE_1
                                        ; implicit-def: $vgpr14_vgpr15
                                        ; implicit-def: $vgpr24_vgpr25
                                        ; implicit-def: $vgpr4_vgpr5
	s_and_saveexec_b32 s6, s5
	s_xor_b32 s5, exec_lo, s6
	s_cbranch_execz .LBB4_3
; %bb.2:
	s_clause 0x1
	flat_load_dwordx4 v[9:12], v[2:3] offset:72
	flat_load_dwordx2 v[4:5], v[2:3] offset:96
	v_add_nc_u32_e32 v6, v6, v8
                                        ; implicit-def: $vgpr8
	v_ashrrev_i32_e32 v7, 31, v6
	s_waitcnt vmcnt(1) lgkmcnt(1)
	v_mul_lo_u32 v7, v11, v7
	v_mad_u64_u32 v[24:25], null, v11, v6, v[9:10]
	v_mul_lo_u32 v6, v12, v6
	s_waitcnt vmcnt(0) lgkmcnt(0)
	v_lshrrev_b64 v[14:15], 12, v[4:5]
	v_mov_b32_e32 v4, v11
	v_mov_b32_e32 v5, v12
                                        ; implicit-def: $vgpr9
	v_add3_u32 v25, v6, v25, v7
.LBB4_3:
	s_andn2_saveexec_b32 s5, s5
	s_cbranch_execz .LBB4_5
; %bb.4:
	s_clause 0x1
	flat_load_dwordx4 v[10:13], v[2:3] offset:72
	flat_load_dwordx4 v[4:7], v[2:3] offset:88
	s_waitcnt vmcnt(0) lgkmcnt(0)
	v_add_nc_u32_sdwa v6, v9, v8 dst_sel:DWORD dst_unused:UNUSED_PAD src0_sel:BYTE_1 src1_sel:DWORD
	v_ashrrev_i32_e32 v8, 31, v6
	v_mul_lo_u32 v8, v12, v8
	v_mad_u64_u32 v[24:25], null, v12, v6, v[10:11]
	v_mul_lo_u32 v6, v13, v6
	v_lshrrev_b32_e32 v14, 1, v7
	v_add3_u32 v25, v6, v25, v8
.LBB4_5:
	s_or_b32 exec_lo, exec_lo, s5
.LBB4_6:
	s_andn2_saveexec_b32 s4, s4
	s_cbranch_execz .LBB4_8
; %bb.7:
	s_clause 0x1
	flat_load_dwordx2 v[6:7], v[2:3] offset:96
	flat_load_dwordx2 v[4:5], v[2:3] offset:72
	v_mov_b32_e32 v24, 0
	v_mov_b32_e32 v25, 0
	s_waitcnt vmcnt(1) lgkmcnt(1)
	v_lshlrev_b64 v[14:15], 9, v[6:7]
.LBB4_8:
	s_or_b32 exec_lo, exec_lo, s4
	s_trap 2
	ds_read_b64 v[6:7], v0
	s_mov_b32 s5, exec_lo
	s_waitcnt lgkmcnt(0)
	v_cmp_ne_u32_e32 vcc_lo, -1, v6
	v_cndmask_b32_e64 v19, 0, 1, vcc_lo
	v_cmp_ne_u32_e32 vcc_lo, -1, v7
	v_add_co_ci_u32_e64 v8, null, 0, v19, vcc_lo
	v_lshlrev_b32_e32 v6, 1, v8
	v_cmpx_le_u32_e64 v6, v1
	s_xor_b32 s24, exec_lo, s5
	s_cbranch_execz .LBB4_1240
; %bb.9:
	s_clause 0x3
	flat_load_dwordx4 v[10:13], v[2:3] offset:16
	flat_load_dwordx2 v[15:16], v[2:3] offset:104
	flat_load_ushort v7, v[2:3] offset:8
	flat_load_dword v6, v[2:3] offset:4
	s_trap 2
	s_load_dword s4, s[8:9], 0x0
	v_mov_b32_e32 v9, 0
	v_mov_b32_e32 v98, 4
	s_waitcnt lgkmcnt(0)
	s_cmp_lt_u32 s12, s4
	s_cselect_b32 s4, 12, 18
	s_add_u32 s4, s8, s4
	s_addc_u32 s5, s9, 0
	global_load_ushort v30, v9, s[4:5]
	ds_read_b32 v9, v0
	s_mov_b32 s5, exec_lo
	s_waitcnt lgkmcnt(0)
	v_readfirstlane_b32 s15, v9
	v_cmpx_ge_u32_e64 v0, v19
	s_cbranch_execz .LBB4_19
; %bb.10:
	v_cmp_ge_u32_e64 s4, v0, v8
                                        ; implicit-def: $vgpr98
	s_and_saveexec_b32 s6, s4
	s_xor_b32 s4, exec_lo, s6
	s_cbranch_execz .LBB4_16
; %bb.11:
	v_cndmask_b32_e64 v9, 0, 1, vcc_lo
	s_mov_b32 s6, exec_lo
	v_sub_nc_u32_e32 v9, v1, v9
	v_cmpx_ge_u32_e64 v0, v9
	s_xor_b32 s6, exec_lo, s6
; %bb.12:
                                        ; implicit-def: $vgpr8
; %bb.13:
	s_or_saveexec_b32 s6, s6
	v_mov_b32_e32 v98, 16
	s_xor_b32 exec_lo, exec_lo, s6
; %bb.14:
	v_sub_nc_u32_e32 v8, v1, v8
	v_cmp_lt_i32_e32 vcc_lo, v0, v8
	v_cndmask_b32_e64 v98, 32, 0, vcc_lo
; %bb.15:
	s_or_b32 exec_lo, exec_lo, s6
.LBB4_16:
	s_andn2_saveexec_b32 s4, s4
; %bb.17:
	v_mov_b32_e32 v98, 8
; %bb.18:
	s_or_b32 exec_lo, exec_lo, s4
.LBB4_19:
	s_or_b32 exec_lo, exec_lo, s5
	v_and_b32_e32 v8, 36, v98
	v_cmp_ne_u32_e32 vcc_lo, 0, v8
	v_mov_b32_e32 v8, -1
	s_and_saveexec_b32 s4, vcc_lo
	s_cbranch_execz .LBB4_21
; %bb.20:
	s_trap 2
	ds_read_b32 v8, v0
.LBB4_21:
	s_or_b32 exec_lo, exec_lo, s4
	v_and_b32_e32 v9, 24, v98
	s_mov_b32 s5, exec_lo
	v_cmpx_ne_u32_e32 0, v9
	s_cbranch_execz .LBB4_23
; %bb.22:
	s_trap 2
	s_waitcnt lgkmcnt(0)
	ds_read_b32 v8, v0
.LBB4_23:
	s_or_b32 exec_lo, exec_lo, s5
	s_waitcnt vmcnt(1)
	v_lshrrev_b64 v[17:18], 31, v[6:7]
	v_mov_b32_e32 v28, 0
	v_mov_b32_e32 v6, 0
	;; [unrolled: 1-line block ×4, first 2 shown]
                                        ; implicit-def: $vgpr26_vgpr27
                                        ; implicit-def: $vgpr99
                                        ; implicit-def: $vgpr64_vgpr65
                                        ; implicit-def: $vgpr34_vgpr35
                                        ; implicit-def: $vgpr48_vgpr49
                                        ; implicit-def: $vgpr32_vgpr33
	v_and_b32_e32 v20, 3, v17
	s_and_saveexec_b32 s4, vcc_lo
	s_cbranch_execz .LBB4_33
; %bb.24:
	s_trap 2
	ds_read_b64 v[6:7], v0
	s_waitcnt lgkmcnt(1)
	v_ashrrev_i32_e32 v9, 31, v8
	s_mov_b32 s5, exec_lo
                                        ; implicit-def: $vgpr26_vgpr27
	v_lshlrev_b64 v[17:18], 3, v[8:9]
	v_and_b32_e32 v9, 0xffff, v20
	s_waitcnt lgkmcnt(0)
	v_add_co_u32 v6, vcc_lo, v6, v17
	v_add_co_ci_u32_e64 v7, null, v7, v18, vcc_lo
	flat_load_dwordx2 v[6:7], v[6:7]
	s_waitcnt vmcnt(0) lgkmcnt(0)
	v_mad_u64_u32 v[17:18], null, 0xa8, v9, v[6:7]
	flat_load_dword v6, v[17:18] offset:640
	s_waitcnt vmcnt(0) lgkmcnt(0)
	v_cmpx_eq_u32_e32 1, v6
	s_cbranch_execz .LBB4_26
; %bb.25:
	flat_load_dwordx2 v[26:27], v[17:18] offset:648
	v_or_b32_e32 v98, 0x2000, v98
	s_waitcnt vmcnt(0) lgkmcnt(0)
	flat_load_dwordx2 v[6:7], v[26:27]
	s_trap 2
	s_waitcnt vmcnt(0) lgkmcnt(0)
	ds_write_b64 v0, v[6:7]
	flat_load_dwordx2 v[6:7], v[26:27] offset:8
	s_waitcnt vmcnt(0) lgkmcnt(0)
	ds_write_b64 v0, v[6:7]
	flat_load_dwordx2 v[6:7], v[26:27] offset:16
	s_waitcnt vmcnt(0) lgkmcnt(0)
	ds_write_b64 v0, v[6:7]
.LBB4_26:
	s_or_b32 exec_lo, exec_lo, s5
	flat_load_dwordx2 v[6:7], v[17:18] offset:608
	v_and_b32_e32 v9, 32, v98
	s_mov_b32 s5, exec_lo
                                        ; implicit-def: $vgpr32_vgpr33
	s_waitcnt vmcnt(0) lgkmcnt(0)
	v_add_co_u32 v6, vcc_lo, v6, 3
	v_add_co_ci_u32_e64 v65, null, 0, v7, vcc_lo
	v_and_b32_e32 v64, -4, v6
	v_cmpx_ne_u32_e32 0, v9
	s_cbranch_execz .LBB4_28
; %bb.27:
	flat_load_dwordx2 v[32:33], v[17:18] offset:560
	s_waitcnt vmcnt(0) lgkmcnt(0)
	s_waitcnt_vscnt null, 0x0
	flat_store_dwordx2 v[32:33], v[64:65]
.LBB4_28:
	s_or_b32 exec_lo, exec_lo, s5
	v_add_co_u32 v28, vcc_lo, 0x1f8, v17
	v_mov_b32_e32 v6, 0
	v_and_b32_e32 v9, 4, v98
	v_add_co_ci_u32_e64 v29, null, 0, v18, vcc_lo
	v_mov_b32_e32 v7, 0
	s_mov_b32 s5, exec_lo
                                        ; implicit-def: $vgpr99
                                        ; implicit-def: $vgpr34_vgpr35
                                        ; implicit-def: $vgpr48_vgpr49
	v_cmpx_ne_u32_e32 0, v9
	s_cbranch_execz .LBB4_32
; %bb.29:
	v_and_b32_e32 v6, 0x800, v98
	s_mov_b32 s6, exec_lo
	v_cmpx_eq_u32_e32 0, v6
	s_cbranch_execz .LBB4_31
; %bb.30:
	s_trap 2
	ds_write_b64 v0, v[28:29]
.LBB4_31:
	s_or_b32 exec_lo, exec_lo, s6
	flat_load_dwordx2 v[32:33], v[17:18] offset:552
	v_or_b32_e32 v9, 0x100, v98
	s_waitcnt vmcnt(0) lgkmcnt(0)
	flat_load_dwordx2 v[48:49], v[32:33] glc dlc
	s_clause 0x2
	flat_load_dwordx2 v[6:7], v[17:18] offset:600
	flat_load_dword v99, v[17:18] offset:576
	flat_load_dwordx2 v[34:35], v[17:18] offset:520
	s_waitcnt vmcnt(2) lgkmcnt(2)
	v_cmp_eq_u64_e32 vcc_lo, 0, v[6:7]
	v_cndmask_b32_e32 v98, v9, v98, vcc_lo
.LBB4_32:
	s_or_b32 exec_lo, exec_lo, s5
.LBB4_33:
	s_or_b32 exec_lo, exec_lo, s4
	v_and_b32_e32 v9, 24, v98
	s_mov_b32 s4, exec_lo
                                        ; implicit-def: $vgpr36_vgpr37
	v_cmpx_ne_u32_e32 0, v9
	s_cbranch_execz .LBB4_41
; %bb.34:
	s_trap 2
	ds_read_b64 v[6:7], v0
	s_waitcnt lgkmcnt(1)
	v_ashrrev_i32_e32 v9, 31, v8
	v_or_b32_e32 v17, 0x100, v98
	s_mov_b32 s5, exec_lo
                                        ; implicit-def: $vgpr36_vgpr37
	v_lshlrev_b64 v[8:9], 3, v[8:9]
	s_waitcnt lgkmcnt(0)
	v_add_co_u32 v6, vcc_lo, v6, v8
	v_add_co_ci_u32_e64 v7, null, v7, v9, vcc_lo
	v_and_b32_e32 v8, 0xffff, v20
	flat_load_dwordx2 v[6:7], v[6:7]
	s_waitcnt vmcnt(0) lgkmcnt(0)
	v_mad_u64_u32 v[28:29], null, 0xa8, v8, v[6:7]
	flat_load_dwordx4 v[6:9], v[28:29] offset:96
	s_waitcnt vmcnt(0) lgkmcnt(0)
	v_cmp_eq_u64_e32 vcc_lo, 0, v[6:7]
	v_cndmask_b32_e32 v98, v17, v98, vcc_lo
	v_and_b32_e32 v17, 16, v98
	v_cmpx_ne_u32_e32 0, v17
	s_cbranch_execz .LBB4_36
; %bb.35:
	s_clause 0x2
	flat_load_dwordx2 v[32:33], v[28:29] offset:48
	flat_load_dwordx2 v[36:37], v[28:29] offset:120
	;; [unrolled: 1-line block ×3, first 2 shown]
.LBB4_36:
	s_or_b32 exec_lo, exec_lo, s5
	v_add_co_u32 v8, vcc_lo, v8, 3
	v_and_b32_e32 v17, 8, v98
	v_add_co_ci_u32_e64 v65, null, 0, v9, vcc_lo
	v_and_b32_e32 v64, -4, v8
	s_mov_b32 s5, exec_lo
	v_cmpx_ne_u32_e32 0, v17
	s_cbranch_execz .LBB4_40
; %bb.37:
	v_and_b32_e32 v8, 0x800, v98
	s_mov_b32 s6, exec_lo
	v_cmpx_eq_u32_e32 0, v8
	s_cbranch_execz .LBB4_39
; %bb.38:
	s_trap 2
	ds_write_b64 v0, v[28:29]
.LBB4_39:
	s_or_b32 exec_lo, exec_lo, s6
	s_waitcnt vmcnt(2) lgkmcnt(2)
	flat_load_dwordx2 v[32:33], v[28:29] offset:56
	s_waitcnt vmcnt(0) lgkmcnt(0)
	flat_load_dwordx2 v[48:49], v[32:33] glc dlc
	s_clause 0x1
	flat_load_dword v99, v[28:29] offset:72
	flat_load_dwordx2 v[34:35], v[28:29] offset:16
.LBB4_40:
	s_or_b32 exec_lo, exec_lo, s5
.LBB4_41:
	s_or_b32 exec_lo, exec_lo, s4
	v_cmp_eq_u32_e64 s4, 0, v0
	s_and_saveexec_b32 s5, s4
	s_cbranch_execz .LBB4_43
; %bb.42:
	s_waitcnt lgkmcnt(0)
	flat_load_dwordx2 v[8:9], v[2:3] offset:32
	ds_write2_b64 v0, v[12:13], v[10:11] offset1:1
	s_trap 2
	s_waitcnt vmcnt(0) lgkmcnt(1)
	ds_write_b64 v0, v[8:9]
	ds_write_b64 v0, v[15:16]
.LBB4_43:
	s_or_b32 exec_lo, exec_lo, s5
	v_mov_b32_e32 v38, 0
	v_mov_b32_e32 v39, 0
	s_mov_b32 s26, exec_lo
	v_cmpx_lt_i64_e32 0, v[4:5]
	s_cbranch_execz .LBB4_1206
; %bb.44:
	flat_load_dword v3, v[2:3] offset:4
	v_lshrrev_b32_e32 v101, 5, v1
	s_ashr_i32 s28, s25, 31
	s_add_u32 s40, s25, -1
	v_and_b32_e32 v112, 0x1fe0, v1
	s_addc_u32 s41, s28, -1
	s_add_i32 s42, s25, s25
	s_not_b32 s11, s25
	s_cmp_gt_i32 s25, 0
	v_lshlrev_b32_e32 v117, 9, v101
	s_cselect_b32 s16, s11, -1
	s_ashr_i32 s17, s15, 31
	v_subrev_nc_u32_e32 v119, 32, v112
	s_add_i32 s43, s16, s42
	s_lshr_b32 s16, s17, 25
	v_add_nc_u32_e32 v41, 0xfffffe00, v117
	s_add_i32 s15, s15, s16
	s_waitcnt lgkmcnt(1)
	v_and_b32_e32 v8, 31, v31
	v_and_b32_e32 v102, 31, v0
	s_ashr_i32 s45, s15, 7
	v_and_b32_e32 v54, 0x3ffffe00, v14
	s_ashr_i32 s44, s43, 31
	v_ashrrev_i32_e32 v42, 31, v119
	s_cmp_gt_i32 s25, 2
	v_ashrrev_i32_e32 v44, 31, v41
	v_mov_b32_e32 v2, 0
	v_lshrrev_b32_e32 v103, 5, v0
	v_cmp_eq_u32_e64 s11, 0, v8
	v_lshlrev_b32_e32 v8, 4, v102
	s_cselect_b32 s46, -1, 0
	s_add_i32 s17, s25, 1
	v_add_co_u32 v45, s16, v119, 32
	v_mad_i64_i32 v[52:53], null, v54, s25, 0
	v_add_co_ci_u32_e64 v46, null, 0, v42, s16
	v_add_co_u32 v47, s16, 0x200, v41
	v_cmp_ge_u32_e32 vcc_lo, v0, v1
	v_mov_b32_e32 v50, 0
	s_waitcnt vmcnt(2)
	v_cmp_eq_u64_e64 s7, 0, v[36:37]
	v_cmp_ne_u64_e64 s10, 0, v[36:37]
	v_mov_b32_e32 v38, 0
	v_add_co_ci_u32_e64 v56, null, 0, v44, s16
	v_ashrrev_i32_e32 v100, 31, v99
	v_cmp_eq_u32_e64 s5, 32, v1
	v_cmp_ne_u32_e64 s6, 32, v1
	s_waitcnt vmcnt(1)
	v_cmp_ne_u32_sdwa s29, v1, v30 src0_sel:DWORD src1_sel:WORD_0
	v_mov_b32_e32 v51, 0
	v_mov_b32_e32 v113, 1
	;; [unrolled: 1-line block ×6, first 2 shown]
	v_cmp_eq_u32_e64 s12, 0, v102
	v_cmp_lt_u32_e64 s13, v102, v19
	v_lshlrev_b32_e32 v116, 11, v101
	v_cmp_le_u32_e64 s14, v102, v19
	v_lshlrev_b32_e32 v118, 10, v101
	v_lshl_or_b32 v40, v103, 10, v8
	v_lshl_or_b32 v43, v103, 11, v8
	s_mov_b32 s27, 0
	s_trap 2
	s_waitcnt vmcnt(0) lgkmcnt(0)
	v_and_b32_e32 v3, 1, v3
	v_cmp_eq_u32_e64 s15, 1, v3
	s_xor_b32 s47, s15, -1
	s_cmp_ge_i32 s17, s25
	s_cselect_b32 s16, s25, 0
	s_add_i32 s56, s25, -2
	s_sub_i32 s58, s17, s16
	s_xor_b32 s57, vcc_lo, -1
	s_ashr_i32 s22, s28, 31
	s_ashr_i32 s59, s58, 31
	s_sub_i32 s60, 0, s25
	s_branch .LBB4_47
.LBB4_45:                               ;   in Loop: Header=BB4_47 Depth=1
	s_or_b32 exec_lo, exec_lo, s18
.LBB4_46:                               ;   in Loop: Header=BB4_47 Depth=1
	s_or_b32 exec_lo, exec_lo, s17
	v_add_co_u32 v50, vcc_lo, v50, v52
	v_add_co_ci_u32_e64 v51, null, v51, v53, vcc_lo
	v_cmp_ge_i64_e32 vcc_lo, v[50:51], v[4:5]
	s_or_b32 s27, vcc_lo, s27
	s_andn2_b32 exec_lo, exec_lo, s27
	s_cbranch_execz .LBB4_1205
.LBB4_47:                               ; =>This Loop Header: Depth=1
                                        ;     Child Loop BB4_57 Depth 2
                                        ;       Child Loop BB4_65 Depth 3
                                        ;       Child Loop BB4_89 Depth 3
                                        ;       Child Loop BB4_108 Depth 3
                                        ;       Child Loop BB4_134 Depth 3
                                        ;       Child Loop BB4_139 Depth 3
                                        ;       Child Loop BB4_145 Depth 3
                                        ;       Child Loop BB4_150 Depth 3
                                        ;       Child Loop BB4_159 Depth 3
                                        ;       Child Loop BB4_178 Depth 3
                                        ;     Child Loop BB4_197 Depth 2
                                        ;       Child Loop BB4_203 Depth 3
                                        ;       Child Loop BB4_227 Depth 3
	;; [unrolled: 1-line block ×3, first 2 shown]
                                        ;     Child Loop BB4_269 Depth 2
                                        ;       Child Loop BB4_272 Depth 3
                                        ;         Child Loop BB4_280 Depth 4
                                        ;         Child Loop BB4_308 Depth 4
                                        ;         Child Loop BB4_327 Depth 4
                                        ;         Child Loop BB4_353 Depth 4
                                        ;         Child Loop BB4_358 Depth 4
                                        ;         Child Loop BB4_364 Depth 4
                                        ;         Child Loop BB4_369 Depth 4
                                        ;         Child Loop BB4_378 Depth 4
                                        ;         Child Loop BB4_397 Depth 4
                                        ;       Child Loop BB4_416 Depth 3
                                        ;         Child Loop BB4_422 Depth 4
                                        ;         Child Loop BB4_450 Depth 4
	;; [unrolled: 1-line block ×3, first 2 shown]
                                        ;     Child Loop BB4_491 Depth 2
                                        ;       Child Loop BB4_499 Depth 3
                                        ;       Child Loop BB4_527 Depth 3
	;; [unrolled: 1-line block ×5, first 2 shown]
                                        ;         Child Loop BB4_579 Depth 4
                                        ;       Child Loop BB4_586 Depth 3
                                        ;       Child Loop BB4_591 Depth 3
                                        ;         Child Loop BB4_592 Depth 4
                                        ;       Child Loop BB4_604 Depth 3
                                        ;       Child Loop BB4_609 Depth 3
	;; [unrolled: 1-line block ×6, first 2 shown]
                                        ;     Child Loop BB4_668 Depth 2
                                        ;       Child Loop BB4_674 Depth 3
                                        ;       Child Loop BB4_702 Depth 3
	;; [unrolled: 1-line block ×3, first 2 shown]
                                        ;     Child Loop BB4_743 Depth 2
                                        ;       Child Loop BB4_746 Depth 3
                                        ;         Child Loop BB4_754 Depth 4
                                        ;         Child Loop BB4_782 Depth 4
	;; [unrolled: 1-line block ×5, first 2 shown]
                                        ;           Child Loop BB4_834 Depth 5
                                        ;         Child Loop BB4_841 Depth 4
                                        ;         Child Loop BB4_846 Depth 4
                                        ;           Child Loop BB4_847 Depth 5
                                        ;         Child Loop BB4_859 Depth 4
                                        ;         Child Loop BB4_864 Depth 4
	;; [unrolled: 1-line block ×6, first 2 shown]
                                        ;       Child Loop BB4_923 Depth 3
                                        ;         Child Loop BB4_929 Depth 4
                                        ;         Child Loop BB4_957 Depth 4
	;; [unrolled: 1-line block ×3, first 2 shown]
                                        ;     Child Loop BB4_1001 Depth 2
                                        ;       Child Loop BB4_1009 Depth 3
                                        ;       Child Loop BB4_1033 Depth 3
	;; [unrolled: 1-line block ×9, first 2 shown]
                                        ;     Child Loop BB4_1139 Depth 2
                                        ;       Child Loop BB4_1145 Depth 3
                                        ;       Child Loop BB4_1169 Depth 3
	;; [unrolled: 1-line block ×3, first 2 shown]
	v_sub_co_u32 v66, vcc_lo, v4, v50
	v_sub_co_ci_u32_e64 v67, null, v5, v51, vcc_lo
	s_mov_b32 s17, exec_lo
	v_cmpx_lt_i64_e64 v[66:67], v[52:53]
	s_cbranch_execz .LBB4_53
; %bb.48:                               ;   in Loop: Header=BB4_47 Depth=1
	v_add_co_u32 v10, vcc_lo, s40, v66
	v_add_co_ci_u32_e64 v11, null, s41, v67, vcc_lo
                                        ; implicit-def: $vgpr8_vgpr9
	s_mov_b32 s16, exec_lo
	v_or_b32_e32 v3, s28, v11
	v_cmpx_ne_u64_e32 0, v[2:3]
	s_xor_b32 s20, exec_lo, s16
	s_cbranch_execz .LBB4_50
; %bb.49:                               ;   in Loop: Header=BB4_47 Depth=1
	s_add_u32 s18, s25, s22
	s_mov_b32 s23, s22
	s_addc_u32 s19, s28, s22
	v_ashrrev_i32_e32 v14, 31, v11
	s_xor_b64 s[18:19], s[18:19], s[22:23]
	v_cvt_f32_u32_e32 v3, s18
	v_cvt_f32_u32_e32 v8, s19
	s_sub_u32 s16, 0, s18
	s_subb_u32 s61, 0, s19
	v_add_co_u32 v9, vcc_lo, v10, v14
	v_fmac_f32_e32 v3, 0x4f800000, v8
	v_xor_b32_e32 v15, v9, v14
	v_rcp_f32_e32 v3, v3
	v_mul_f32_e32 v3, 0x5f7ffffc, v3
	v_mul_f32_e32 v8, 0x2f800000, v3
	v_trunc_f32_e32 v8, v8
	v_fmac_f32_e32 v3, 0xcf800000, v8
	v_cvt_u32_f32_e32 v8, v8
	v_cvt_u32_f32_e32 v3, v3
	v_readfirstlane_b32 s21, v8
	v_readfirstlane_b32 s23, v3
	s_mul_i32 s62, s16, s21
	v_add_co_ci_u32_e64 v3, null, v11, v14, vcc_lo
	s_mul_hi_u32 s72, s16, s23
	s_mul_i32 s63, s61, s23
	s_add_i32 s62, s72, s62
	s_mul_i32 s73, s16, s23
	s_add_i32 s62, s62, s63
	s_mul_hi_u32 s72, s23, s73
	s_mul_i32 s75, s23, s62
	s_mul_hi_u32 s74, s21, s73
	s_mul_i32 s63, s21, s73
	s_mul_hi_u32 s73, s23, s62
	s_add_u32 s72, s72, s75
	s_addc_u32 s73, 0, s73
	s_mul_hi_u32 s76, s21, s62
	s_add_u32 s63, s72, s63
	s_mul_i32 s62, s21, s62
	s_addc_u32 s63, s73, s74
	s_addc_u32 s72, s76, 0
	s_add_u32 s62, s63, s62
	s_addc_u32 s63, 0, s72
	s_add_u32 s23, s23, s62
	s_cselect_b32 s62, -1, 0
	s_mul_hi_u32 s72, s16, s23
	s_cmp_lg_u32 s62, 0
	s_mul_i32 s62, s16, s23
	s_addc_u32 s21, s21, s63
	s_mul_i32 s61, s61, s23
	s_mul_i32 s16, s16, s21
	s_mul_hi_u32 s63, s23, s62
	s_add_i32 s16, s72, s16
	s_mul_hi_u32 s72, s21, s62
	s_add_i32 s16, s16, s61
	s_mul_i32 s61, s21, s62
	s_mul_i32 s74, s23, s16
	s_mul_hi_u32 s73, s23, s16
	s_add_u32 s63, s63, s74
	s_addc_u32 s73, 0, s73
	s_mul_hi_u32 s62, s21, s16
	s_add_u32 s61, s63, s61
	s_mul_i32 s16, s21, s16
	s_addc_u32 s61, s73, s72
	s_addc_u32 s62, s62, 0
	s_add_u32 s16, s61, s16
	s_addc_u32 s61, 0, s62
	s_add_u32 s16, s23, s16
	s_cselect_b32 s23, -1, 0
	v_xor_b32_e32 v3, v3, v14
	s_cmp_lg_u32 s23, 0
	v_mul_hi_u32 v16, v15, s16
	s_addc_u32 s21, s21, s61
	v_mad_u64_u32 v[8:9], null, v15, s21, 0
	v_mad_u64_u32 v[10:11], null, v3, s16, 0
	;; [unrolled: 1-line block ×3, first 2 shown]
	v_add_co_u32 v8, vcc_lo, v16, v8
	v_add_co_ci_u32_e64 v9, null, 0, v9, vcc_lo
	v_add_co_u32 v8, vcc_lo, v8, v10
	v_add_co_ci_u32_e32 v8, vcc_lo, v9, v11, vcc_lo
	v_add_co_ci_u32_e32 v9, vcc_lo, 0, v13, vcc_lo
	v_add_co_u32 v10, vcc_lo, v8, v12
	v_add_co_ci_u32_e64 v11, null, 0, v9, vcc_lo
	v_mul_lo_u32 v12, s19, v10
	v_mad_u64_u32 v[8:9], null, s18, v10, 0
	v_mul_lo_u32 v13, s18, v11
	v_sub_co_u32 v8, vcc_lo, v15, v8
	v_add3_u32 v9, v9, v13, v12
	v_add_co_u32 v13, s16, v10, 2
	v_add_co_ci_u32_e64 v15, null, 0, v11, s16
	v_sub_nc_u32_e32 v12, v3, v9
	v_sub_co_u32 v16, s16, v8, s18
	v_sub_co_ci_u32_e64 v3, null, v3, v9, vcc_lo
	v_subrev_co_ci_u32_e64 v12, null, s19, v12, vcc_lo
	v_cmp_le_u32_e32 vcc_lo, s18, v16
	v_subrev_co_ci_u32_e64 v12, null, 0, v12, s16
	v_cndmask_b32_e64 v9, 0, -1, vcc_lo
	v_cmp_le_u32_e32 vcc_lo, s19, v12
	v_cndmask_b32_e64 v16, 0, -1, vcc_lo
	v_cmp_le_u32_e32 vcc_lo, s18, v8
	;; [unrolled: 2-line block ×3, first 2 shown]
	v_cndmask_b32_e64 v17, 0, -1, vcc_lo
	v_cmp_eq_u32_e32 vcc_lo, s19, v12
	v_cndmask_b32_e32 v9, v16, v9, vcc_lo
	v_add_co_u32 v12, vcc_lo, v10, 1
	v_add_co_ci_u32_e64 v16, null, 0, v11, vcc_lo
	v_cmp_eq_u32_e32 vcc_lo, s19, v3
	v_cndmask_b32_e32 v3, v17, v8, vcc_lo
	v_cmp_ne_u32_e32 vcc_lo, 0, v9
	v_xor_b32_e32 v9, s22, v14
	v_cmp_ne_u32_e64 s16, 0, v3
	v_cndmask_b32_e32 v3, v12, v13, vcc_lo
	v_cndmask_b32_e32 v8, v16, v15, vcc_lo
	v_cndmask_b32_e64 v3, v10, v3, s16
	v_cndmask_b32_e64 v8, v11, v8, s16
	v_xor_b32_e32 v3, v3, v9
	v_xor_b32_e32 v10, v8, v9
	v_sub_co_u32 v8, vcc_lo, v3, v9
	v_sub_co_ci_u32_e64 v9, null, v10, v9, vcc_lo
                                        ; implicit-def: $vgpr10
.LBB4_50:                               ;   in Loop: Header=BB4_47 Depth=1
	s_andn2_saveexec_b32 s16, s20
	s_cbranch_execz .LBB4_52
; %bb.51:                               ;   in Loop: Header=BB4_47 Depth=1
	v_cvt_f32_u32_e32 v3, s25
	v_rcp_iflag_f32_e32 v3, v3
	v_mul_f32_e32 v3, 0x4f7ffffe, v3
	v_cvt_u32_f32_e32 v3, v3
	v_mul_lo_u32 v8, s60, v3
	v_mul_hi_u32 v8, v3, v8
	v_add_nc_u32_e32 v3, v3, v8
	v_mul_hi_u32 v3, v10, v3
	v_mul_lo_u32 v8, v3, s25
	v_add_nc_u32_e32 v9, 1, v3
	v_sub_nc_u32_e32 v8, v10, v8
	v_subrev_nc_u32_e32 v10, s25, v8
	v_cmp_le_u32_e32 vcc_lo, s25, v8
	v_cndmask_b32_e32 v8, v8, v10, vcc_lo
	v_cndmask_b32_e32 v3, v3, v9, vcc_lo
	v_cmp_le_u32_e32 vcc_lo, s25, v8
	v_add_nc_u32_e32 v9, 1, v3
	v_cndmask_b32_e32 v8, v3, v9, vcc_lo
	v_mov_b32_e32 v9, v2
.LBB4_52:                               ;   in Loop: Header=BB4_47 Depth=1
	s_or_b32 exec_lo, exec_lo, s16
	v_add_co_u32 v3, vcc_lo, v8, 15
	v_add_co_ci_u32_e64 v55, null, 0, v9, vcc_lo
	v_and_b32_e32 v54, -16, v3
.LBB4_53:                               ;   in Loop: Header=BB4_47 Depth=1
	s_or_b32 exec_lo, exec_lo, s17
	v_mul_lo_u32 v3, v55, s43
	v_mul_lo_u32 v8, v54, s44
	v_mad_u64_u32 v[10:11], null, v54, s43, 0
	v_mov_b32_e32 v21, 0
	v_add3_u32 v11, v11, v8, v3
	v_sub_co_u32 v8, vcc_lo, v66, v10
	v_sub_co_ci_u32_e64 v9, null, v67, v11, vcc_lo
	v_cmp_lt_i64_e32 vcc_lo, v[54:55], v[8:9]
	v_cndmask_b32_e32 v8, v8, v54, vcc_lo
	v_add_co_u32 v57, vcc_lo, v50, v24
	v_add_co_ci_u32_e64 v58, null, v51, v25, vcc_lo
	v_max_i32_e32 v20, 0, v8
	v_cmp_lt_i32_e32 vcc_lo, 0, v8
	v_add_nc_u32_e32 v3, 31, v20
	s_and_b32 s16, s57, vcc_lo
	v_lshrrev_b32_e32 v3, 1, v3
	v_and_b32_e32 v9, 0x3ffffff0, v3
	v_mov_b32_e32 v3, 0
	v_max_i32_e32 v8, s45, v9
	s_and_saveexec_b32 s18, s16
	s_cbranch_execz .LBB4_193
; %bb.54:                               ;   in Loop: Header=BB4_47 Depth=1
	v_mov_b32_e32 v21, 0
	s_mov_b32 s21, 1
	s_mov_b32 s20, -1
	s_mov_b32 s19, 0
	s_branch .LBB4_57
.LBB4_55:                               ;   in Loop: Header=BB4_57 Depth=2
	s_or_b32 exec_lo, exec_lo, s17
	v_add_co_u32 v64, vcc_lo, v64, 2
	v_add_co_ci_u32_e64 v65, null, 0, v65, vcc_lo
	s_waitcnt vmcnt(0) lgkmcnt(0)
	s_waitcnt_vscnt null, 0x0
	flat_store_dwordx2 v[32:33], v[64:65]
.LBB4_56:                               ;   in Loop: Header=BB4_57 Depth=2
	s_or_b32 exec_lo, exec_lo, s16
	v_add_nc_u32_e32 v21, v8, v21
	s_xor_b32 s16, s20, -1
	v_mov_b32_e32 v3, s21
	s_mov_b32 s20, 0
	s_mov_b32 s21, 2
	v_cmp_ge_i32_e32 vcc_lo, v21, v20
	s_or_b32 s16, s16, vcc_lo
	s_and_b32 s16, exec_lo, s16
	s_or_b32 s19, s16, s19
	s_andn2_b32 exec_lo, exec_lo, s19
	s_cbranch_execz .LBB4_192
.LBB4_57:                               ;   Parent Loop BB4_47 Depth=1
                                        ; =>  This Loop Header: Depth=2
                                        ;       Child Loop BB4_65 Depth 3
                                        ;       Child Loop BB4_89 Depth 3
	;; [unrolled: 1-line block ×9, first 2 shown]
	s_and_saveexec_b32 s16, s4
	s_cbranch_execz .LBB4_59
; %bb.58:                               ;   in Loop: Header=BB4_57 Depth=2
	s_trap 2
	ds_read_b64 v[12:13], v0
	s_waitcnt lgkmcnt(0)
	v_add_co_u32 v3, vcc_lo, v12, v57
	v_add_co_ci_u32_e64 v9, null, v13, v58, vcc_lo
	v_ashrrev_i32_e32 v13, 31, v21
	v_add_co_u32 v3, vcc_lo, v3, v10
	v_add_co_ci_u32_e64 v9, null, v9, v11, vcc_lo
	v_add_co_u32 v12, vcc_lo, v3, v21
	v_add_co_ci_u32_e64 v13, null, v9, v13, vcc_lo
	v_mov_b32_e32 v3, v2
	ds_write_b64 v0, v[12:13]
	ds_write_b64 v0, v[2:3]
.LBB4_59:                               ;   in Loop: Header=BB4_57 Depth=2
	s_or_b32 exec_lo, exec_lo, s16
	v_sub_nc_u32_e32 v3, v20, v21
	v_and_b32_e32 v9, 8, v98
	s_mov_b32 s17, exec_lo
	v_min_i32_e32 v8, v8, v3
	v_cmpx_ne_u32_e32 0, v9
	s_cbranch_execz .LBB4_81
; %bb.60:                               ;   in Loop: Header=BB4_57 Depth=2
	s_waitcnt vmcnt(0) lgkmcnt(1)
	v_add_co_u32 v14, vcc_lo, v48, 8
	v_add_co_ci_u32_e64 v15, null, 0, v49, vcc_lo
	v_add_co_u32 v12, vcc_lo, v64, 2
	v_add_co_ci_u32_e64 v13, null, 0, v65, vcc_lo
	s_mov_b32 s23, exec_lo
	v_cmpx_lt_u64_e64 v[14:15], v[12:13]
	s_cbranch_execz .LBB4_72
; %bb.61:                               ;   in Loop: Header=BB4_57 Depth=2
	v_and_b32_e32 v3, 64, v98
	s_mov_b32 s61, 0
	s_mov_b32 s73, 0
                                        ; implicit-def: $sgpr62
                                        ; implicit-def: $sgpr63
                                        ; implicit-def: $sgpr72
	v_cmp_eq_u32_e32 vcc_lo, 0, v3
	s_branch .LBB4_65
.LBB4_62:                               ;   in Loop: Header=BB4_65 Depth=3
	s_waitcnt vmcnt(0) lgkmcnt(0)
	v_add_co_u32 v14, s16, v48, 8
	v_add_co_ci_u32_e64 v15, null, 0, v49, s16
	s_or_b32 s76, s76, exec_lo
	v_cmp_ge_u64_e64 s16, v[14:15], v[12:13]
	s_orn2_b32 s75, s16, exec_lo
.LBB4_63:                               ;   in Loop: Header=BB4_65 Depth=3
	s_or_b32 exec_lo, exec_lo, s78
	s_andn2_b32 s16, s72, exec_lo
	s_and_b32 s72, s76, exec_lo
	s_andn2_b32 s63, s63, exec_lo
	s_and_b32 s75, s75, exec_lo
	s_or_b32 s72, s16, s72
	s_or_b32 s63, s63, s75
.LBB4_64:                               ;   in Loop: Header=BB4_65 Depth=3
	s_or_b32 exec_lo, exec_lo, s74
	s_and_b32 s16, exec_lo, s63
	s_or_b32 s61, s16, s61
	s_andn2_b32 s16, s62, exec_lo
	s_and_b32 s62, s72, exec_lo
	s_or_b32 s62, s16, s62
	s_andn2_b32 exec_lo, exec_lo, s61
	s_cbranch_execz .LBB4_69
.LBB4_65:                               ;   Parent Loop BB4_47 Depth=1
                                        ;     Parent Loop BB4_57 Depth=2
                                        ; =>    This Inner Loop Header: Depth=3
	s_sleep 1
	s_waitcnt vmcnt(0) lgkmcnt(0)
	flat_load_dwordx2 v[48:49], v[32:33] glc dlc
	s_or_b32 s72, s72, exec_lo
	s_or_b32 s63, s63, exec_lo
                                        ; implicit-def: $vgpr3
	s_and_saveexec_b32 s74, vcc_lo
	s_cbranch_execz .LBB4_64
; %bb.66:                               ;   in Loop: Header=BB4_65 Depth=3
	s_cmpk_lt_i32 s73, 0x270f
	s_mov_b32 s75, -1
	s_cselect_b32 s77, -1, 0
	s_cmpk_gt_i32 s73, 0x270e
	s_cbranch_scc0 .LBB4_68
; %bb.67:                               ;   in Loop: Header=BB4_65 Depth=3
	s_trap 2
	ds_read_b64 v[14:15], v0
	s_andn2_b32 s73, s77, exec_lo
	s_mov_b32 s76, 0
	s_waitcnt vmcnt(0) lgkmcnt(0)
	s_waitcnt_vscnt null, 0x0
	flat_load_dword v3, v[14:15] glc dlc
	s_waitcnt vmcnt(0) lgkmcnt(0)
	buffer_gl1_inv
	buffer_gl0_inv
	v_cmp_eq_u32_e64 s16, 0, v3
	s_and_b32 s16, s16, exec_lo
	s_or_b32 s77, s73, s16
	s_mov_b32 s73, 0
	s_and_saveexec_b32 s78, s77
	s_cbranch_execz .LBB4_63
	s_branch .LBB4_62
.LBB4_68:                               ;   in Loop: Header=BB4_65 Depth=3
	s_add_i32 s73, s73, 1
	s_mov_b32 s76, -1
                                        ; implicit-def: $vgpr3
	s_and_saveexec_b32 s78, s77
	s_cbranch_execz .LBB4_63
	s_branch .LBB4_62
.LBB4_69:                               ;   in Loop: Header=BB4_57 Depth=2
	s_or_b32 exec_lo, exec_lo, s61
	s_xor_b32 s16, s62, -1
	s_and_saveexec_b32 s61, s16
	s_xor_b32 s16, exec_lo, s61
	s_cbranch_execz .LBB4_71
; %bb.70:                               ;   in Loop: Header=BB4_57 Depth=2
	v_or_b32_e32 v98, 64, v98
	s_waitcnt vmcnt(0) lgkmcnt(0)
	s_waitcnt_vscnt null, 0x0
	ds_write_b32 v0, v3
	s_trap 2
.LBB4_71:                               ;   in Loop: Header=BB4_57 Depth=2
	s_or_b32 exec_lo, exec_lo, s16
.LBB4_72:                               ;   in Loop: Header=BB4_57 Depth=2
	s_or_b32 exec_lo, exec_lo, s23
	v_and_b32_e32 v3, 0x100, v98
	s_mov_b32 s16, -1
	;;#ASMSTART
	s_wakeup
	;;#ASMEND
                                        ; implicit-def: $vgpr14_vgpr15
	v_cmp_ne_u32_e32 vcc_lo, 0, v3
	v_and_b32_e32 v3, 7, v64
	s_and_saveexec_b32 s23, vcc_lo
	s_cbranch_execz .LBB4_76
; %bb.73:                               ;   in Loop: Header=BB4_57 Depth=2
	v_mad_u64_u32 v[16:17], null, v3, 24, v[6:7]
	v_ashrrev_i32_e32 v9, 31, v8
	flat_load_dword v14, v[16:17]
	flat_store_dwordx2 v[16:17], v[8:9] offset:8
	s_waitcnt vmcnt(0) lgkmcnt(1)
	v_cmp_eq_u32_e64 s16, 1, v14
	v_cmp_ne_u32_e32 vcc_lo, 1, v14
                                        ; implicit-def: $vgpr14_vgpr15
	s_and_saveexec_b32 s61, s16
	s_cbranch_execz .LBB4_75
; %bb.74:                               ;   in Loop: Header=BB4_57 Depth=2
	flat_load_dword v14, v[16:17] offset:4 glc dlc
	s_waitcnt vmcnt(0) lgkmcnt(0)
	v_ashrrev_i32_e32 v15, 31, v14
.LBB4_75:                               ;   in Loop: Header=BB4_57 Depth=2
	s_or_b32 exec_lo, exec_lo, s61
	s_orn2_b32 s16, vcc_lo, exec_lo
.LBB4_76:                               ;   in Loop: Header=BB4_57 Depth=2
	s_or_b32 exec_lo, exec_lo, s23
	s_and_saveexec_b32 s23, s16
; %bb.77:                               ;   in Loop: Header=BB4_57 Depth=2
	v_mad_i64_i32 v[14:15], null, v3, v99, 0
; %bb.78:                               ;   in Loop: Header=BB4_57 Depth=2
	s_or_b32 exec_lo, exec_lo, s23
	v_add_co_u32 v14, vcc_lo, v34, v14
	v_and_b32_e32 v3, 0x2000, v98
	v_add_co_ci_u32_e64 v15, null, v35, v15, vcc_lo
	s_mov_b32 s16, exec_lo
	ds_write_b64 v0, v[14:15] offset:784
	v_cmpx_ne_u32_e32 0, v3
	s_cbranch_execz .LBB4_80
; %bb.79:                               ;   in Loop: Header=BB4_57 Depth=2
	ds_read_b64 v[14:15], v0 offset:872
	s_waitcnt lgkmcnt(0)
	v_add_co_u32 v14, vcc_lo, v14, 1
	v_add_co_ci_u32_e64 v15, null, 0, v15, vcc_lo
	ds_write_b64 v0, v[14:15] offset:872
.LBB4_80:                               ;   in Loop: Header=BB4_57 Depth=2
	s_or_b32 exec_lo, exec_lo, s16
	v_mov_b32_e32 v65, v13
	v_mov_b32_e32 v64, v12
.LBB4_81:                               ;   in Loop: Header=BB4_57 Depth=2
	s_or_b32 exec_lo, exec_lo, s17
	s_and_saveexec_b32 s16, s6
	s_cbranch_execz .LBB4_100
; %bb.82:                               ;   in Loop: Header=BB4_57 Depth=2
	s_and_saveexec_b32 s17, s29
	s_xor_b32 s17, exec_lo, s17
	s_cbranch_execz .LBB4_97
; %bb.83:                               ;   in Loop: Header=BB4_57 Depth=2
	s_and_saveexec_b32 s23, s11
	s_cbranch_execz .LBB4_96
; %bb.84:                               ;   in Loop: Header=BB4_57 Depth=2
	s_mov_b32 s62, exec_lo
	s_mov_b32 s61, exec_lo
	v_mbcnt_lo_u32_b32 v3, s62, 0
	s_waitcnt vmcnt(0) lgkmcnt(0)
	s_waitcnt_vscnt null, 0x0
	buffer_gl1_inv
	buffer_gl0_inv
	v_cmpx_eq_u32_e32 0, v3
	s_cbranch_execz .LBB4_86
; %bb.85:                               ;   in Loop: Header=BB4_57 Depth=2
	s_bcnt1_i32_b32 s62, s62
	v_mov_b32_e32 v13, v2
	v_mov_b32_e32 v12, s62
	ds_add_u64 v0, v[12:13]
	s_trap 2
.LBB4_86:                               ;   in Loop: Header=BB4_57 Depth=2
	s_or_b32 exec_lo, exec_lo, s61
	s_trap 2
	ds_read_b64 v[12:13], v0
	s_waitcnt lgkmcnt(0)
	buffer_gl0_inv
	v_add_co_u32 v38, vcc_lo, v38, v101
	v_add_co_ci_u32_e64 v39, null, 0, v39, vcc_lo
	s_mov_b32 s61, exec_lo
	v_cmpx_lt_u64_e64 v[12:13], v[38:39]
	s_cbranch_execz .LBB4_95
; %bb.87:                               ;   in Loop: Header=BB4_57 Depth=2
	s_mov_b32 s62, 0
	s_mov_b32 s73, 0
                                        ; implicit-def: $sgpr63
                                        ; implicit-def: $sgpr72
	s_inst_prefetch 0x1
	s_branch .LBB4_89
	.p2align	6
.LBB4_88:                               ;   in Loop: Header=BB4_89 Depth=3
	s_or_b32 exec_lo, exec_lo, s75
	s_and_b32 s74, exec_lo, s76
	s_or_b32 s62, s74, s62
	s_andn2_b32 s63, s63, exec_lo
	s_and_b32 s74, s72, exec_lo
	s_or_b32 s63, s63, s74
	s_andn2_b32 exec_lo, exec_lo, s62
	s_cbranch_execz .LBB4_93
.LBB4_89:                               ;   Parent Loop BB4_47 Depth=1
                                        ;     Parent Loop BB4_57 Depth=2
                                        ; =>    This Inner Loop Header: Depth=3
	s_add_i32 s73, s73, 1
	s_cmpk_lg_i32 s73, 0x2710
	s_cselect_b32 s74, -1, 0
	s_and_b32 vcc_lo, exec_lo, s74
	s_cbranch_vccz .LBB4_91
; %bb.90:                               ;   in Loop: Header=BB4_89 Depth=3
	s_mov_b32 s76, -1
	s_or_b32 s72, s72, exec_lo
	s_and_saveexec_b32 s75, s74
	s_cbranch_execz .LBB4_88
	s_branch .LBB4_92
	.p2align	6
.LBB4_91:                               ;   in Loop: Header=BB4_89 Depth=3
	s_trap 2
	ds_read_b64 v[12:13], v0
	s_andn2_b32 s74, s74, exec_lo
	s_mov_b32 s73, 0
	s_waitcnt lgkmcnt(0)
	flat_load_dword v3, v[12:13] glc dlc
	s_waitcnt vmcnt(0) lgkmcnt(0)
	buffer_gl1_inv
	buffer_gl0_inv
	v_cmp_eq_u32_e32 vcc_lo, 0, v3
	s_and_b32 s75, vcc_lo, exec_lo
	s_or_b32 s74, s74, s75
	s_mov_b32 s76, -1
	s_or_b32 s72, s72, exec_lo
	s_and_saveexec_b32 s75, s74
	s_cbranch_execz .LBB4_88
.LBB4_92:                               ;   in Loop: Header=BB4_89 Depth=3
	s_sleep 1
	s_trap 2
	ds_read_b64 v[12:13], v0
	s_waitcnt lgkmcnt(0)
	buffer_gl0_inv
	s_andn2_b32 s72, s72, exec_lo
	v_cmp_ge_u64_e32 vcc_lo, v[12:13], v[38:39]
	s_orn2_b32 s76, vcc_lo, exec_lo
	s_branch .LBB4_88
.LBB4_93:                               ;   in Loop: Header=BB4_57 Depth=2
	s_inst_prefetch 0x2
	s_or_b32 exec_lo, exec_lo, s62
	s_and_saveexec_b32 s62, s63
	s_xor_b32 s62, exec_lo, s62
	s_cbranch_execz .LBB4_95
; %bb.94:                               ;   in Loop: Header=BB4_57 Depth=2
	ds_write_b32 v0, v113
	s_trap 2
.LBB4_95:                               ;   in Loop: Header=BB4_57 Depth=2
	s_or_b32 exec_lo, exec_lo, s61
	;;#ASMSTART
	s_wakeup
	;;#ASMEND
.LBB4_96:                               ;   in Loop: Header=BB4_57 Depth=2
	s_or_b32 exec_lo, exec_lo, s23
.LBB4_97:                               ;   in Loop: Header=BB4_57 Depth=2
	s_andn2_saveexec_b32 s17, s17
	s_cbranch_execz .LBB4_99
; %bb.98:                               ;   in Loop: Header=BB4_57 Depth=2
	s_waitcnt vmcnt(0) lgkmcnt(0)
	s_waitcnt_vscnt null, 0x0
	buffer_gl1_inv
	buffer_gl0_inv
	s_barrier
.LBB4_99:                               ;   in Loop: Header=BB4_57 Depth=2
	s_or_b32 exec_lo, exec_lo, s17
.LBB4_100:                              ;   in Loop: Header=BB4_57 Depth=2
	s_or_b32 exec_lo, exec_lo, s16
	s_trap 2
	ds_read_b32 v3, v0
	v_and_b32_e32 v9, 0x4000, v98
	s_xor_b32 s16, s5, -1
	v_cmp_ne_u32_e32 vcc_lo, 0, v9
	s_and_b32 s17, s16, vcc_lo
	s_and_saveexec_b32 s16, s17
	s_cbranch_execz .LBB4_119
; %bb.101:                              ;   in Loop: Header=BB4_57 Depth=2
	s_and_saveexec_b32 s17, s29
	s_xor_b32 s17, exec_lo, s17
	s_cbranch_execz .LBB4_116
; %bb.102:                              ;   in Loop: Header=BB4_57 Depth=2
	s_and_saveexec_b32 s23, s11
	s_cbranch_execz .LBB4_115
; %bb.103:                              ;   in Loop: Header=BB4_57 Depth=2
	s_mov_b32 s62, exec_lo
	s_mov_b32 s61, exec_lo
	v_mbcnt_lo_u32_b32 v9, s62, 0
	s_waitcnt vmcnt(0) lgkmcnt(0)
	s_waitcnt_vscnt null, 0x0
	buffer_gl1_inv
	buffer_gl0_inv
	v_cmpx_eq_u32_e32 0, v9
	s_cbranch_execz .LBB4_105
; %bb.104:                              ;   in Loop: Header=BB4_57 Depth=2
	s_bcnt1_i32_b32 s62, s62
	v_mov_b32_e32 v13, v2
	v_mov_b32_e32 v12, s62
	ds_add_u64 v0, v[12:13]
	s_trap 2
.LBB4_105:                              ;   in Loop: Header=BB4_57 Depth=2
	s_or_b32 exec_lo, exec_lo, s61
	s_trap 2
	ds_read_b64 v[12:13], v0
	s_waitcnt lgkmcnt(0)
	buffer_gl0_inv
	v_add_co_u32 v38, vcc_lo, v38, v101
	v_add_co_ci_u32_e64 v39, null, 0, v39, vcc_lo
	s_mov_b32 s61, exec_lo
	v_cmpx_lt_u64_e64 v[12:13], v[38:39]
	s_cbranch_execz .LBB4_114
; %bb.106:                              ;   in Loop: Header=BB4_57 Depth=2
	s_mov_b32 s62, 0
	s_mov_b32 s73, 0
                                        ; implicit-def: $sgpr63
                                        ; implicit-def: $sgpr72
	s_inst_prefetch 0x1
	s_branch .LBB4_108
	.p2align	6
.LBB4_107:                              ;   in Loop: Header=BB4_108 Depth=3
	s_or_b32 exec_lo, exec_lo, s75
	s_and_b32 s74, exec_lo, s76
	s_or_b32 s62, s74, s62
	s_andn2_b32 s63, s63, exec_lo
	s_and_b32 s74, s72, exec_lo
	s_or_b32 s63, s63, s74
	s_andn2_b32 exec_lo, exec_lo, s62
	s_cbranch_execz .LBB4_112
.LBB4_108:                              ;   Parent Loop BB4_47 Depth=1
                                        ;     Parent Loop BB4_57 Depth=2
                                        ; =>    This Inner Loop Header: Depth=3
	s_add_i32 s73, s73, 1
	s_cmpk_lg_i32 s73, 0x2710
	s_cselect_b32 s74, -1, 0
	s_and_b32 vcc_lo, exec_lo, s74
	s_cbranch_vccz .LBB4_110
; %bb.109:                              ;   in Loop: Header=BB4_108 Depth=3
	s_mov_b32 s76, -1
	s_or_b32 s72, s72, exec_lo
	s_and_saveexec_b32 s75, s74
	s_cbranch_execz .LBB4_107
	s_branch .LBB4_111
	.p2align	6
.LBB4_110:                              ;   in Loop: Header=BB4_108 Depth=3
	s_trap 2
	ds_read_b64 v[12:13], v0
	s_andn2_b32 s74, s74, exec_lo
	s_mov_b32 s73, 0
	s_waitcnt lgkmcnt(0)
	flat_load_dword v9, v[12:13] glc dlc
	s_waitcnt vmcnt(0) lgkmcnt(0)
	buffer_gl1_inv
	buffer_gl0_inv
	v_cmp_eq_u32_e32 vcc_lo, 0, v9
	s_and_b32 s75, vcc_lo, exec_lo
	s_or_b32 s74, s74, s75
	s_mov_b32 s76, -1
	s_or_b32 s72, s72, exec_lo
	s_and_saveexec_b32 s75, s74
	s_cbranch_execz .LBB4_107
.LBB4_111:                              ;   in Loop: Header=BB4_108 Depth=3
	s_sleep 1
	s_trap 2
	ds_read_b64 v[12:13], v0
	s_waitcnt lgkmcnt(0)
	buffer_gl0_inv
	s_andn2_b32 s72, s72, exec_lo
	v_cmp_ge_u64_e32 vcc_lo, v[12:13], v[38:39]
	s_orn2_b32 s76, vcc_lo, exec_lo
	s_branch .LBB4_107
.LBB4_112:                              ;   in Loop: Header=BB4_57 Depth=2
	s_inst_prefetch 0x2
	s_or_b32 exec_lo, exec_lo, s62
	s_and_saveexec_b32 s62, s63
	s_xor_b32 s62, exec_lo, s62
	s_cbranch_execz .LBB4_114
; %bb.113:                              ;   in Loop: Header=BB4_57 Depth=2
	ds_write_b32 v0, v113
	s_trap 2
.LBB4_114:                              ;   in Loop: Header=BB4_57 Depth=2
	s_or_b32 exec_lo, exec_lo, s61
	;;#ASMSTART
	s_wakeup
	;;#ASMEND
.LBB4_115:                              ;   in Loop: Header=BB4_57 Depth=2
	s_or_b32 exec_lo, exec_lo, s23
.LBB4_116:                              ;   in Loop: Header=BB4_57 Depth=2
	s_andn2_saveexec_b32 s17, s17
	s_cbranch_execz .LBB4_118
; %bb.117:                              ;   in Loop: Header=BB4_57 Depth=2
	s_waitcnt vmcnt(0) lgkmcnt(0)
	s_waitcnt_vscnt null, 0x0
	buffer_gl1_inv
	buffer_gl0_inv
	s_barrier
.LBB4_118:                              ;   in Loop: Header=BB4_57 Depth=2
	s_or_b32 exec_lo, exec_lo, s17
.LBB4_119:                              ;   in Loop: Header=BB4_57 Depth=2
	s_or_b32 exec_lo, exec_lo, s16
	s_trap 2
	ds_read_b64 v[12:13], v0
	s_waitcnt lgkmcnt(0)
	v_cmp_eq_u64_e32 vcc_lo, 0, v[12:13]
	s_cbranch_vccnz .LBB4_127
; %bb.120:                              ;   in Loop: Header=BB4_57 Depth=2
	s_trap 2
	ds_read_b64 v[14:15], v0
	s_waitcnt lgkmcnt(0)
	v_cmp_eq_u64_e32 vcc_lo, 0, v[14:15]
	s_cbranch_vccnz .LBB4_127
; %bb.121:                              ;   in Loop: Header=BB4_57 Depth=2
	s_mov_b32 s16, -1
	s_and_saveexec_b32 s17, s12
	s_cbranch_execz .LBB4_123
; %bb.122:                              ;   in Loop: Header=BB4_57 Depth=2
	ds_read_b32 v9, v0 offset:720
	s_waitcnt lgkmcnt(0)
	v_and_b32_e32 v9, 15, v9
	v_cmp_eq_u32_e32 vcc_lo, 0, v9
	s_orn2_b32 s16, vcc_lo, exec_lo
.LBB4_123:                              ;   in Loop: Header=BB4_57 Depth=2
	s_or_b32 exec_lo, exec_lo, s17
	s_and_saveexec_b32 s17, s13
	s_cbranch_execz .LBB4_125
; %bb.124:                              ;   in Loop: Header=BB4_57 Depth=2
	ds_read_b32 v9, v0 offset:784
	s_waitcnt lgkmcnt(0)
	v_and_b32_e32 v9, 15, v9
	v_cmp_eq_u32_e32 vcc_lo, 0, v9
	s_and_b32 s23, s16, vcc_lo
	s_andn2_b32 s16, s16, exec_lo
	s_and_b32 s23, s23, exec_lo
	s_or_b32 s16, s16, s23
.LBB4_125:                              ;   in Loop: Header=BB4_57 Depth=2
	s_or_b32 exec_lo, exec_lo, s17
	v_cmp_eq_u32_e32 vcc_lo, 0, v3
	s_xor_b32 s16, s16, -1
	v_mov_b32_e32 v17, v0
	v_cndmask_b32_e64 v9, 0, 1, s16
	s_mov_b32 s16, -1
	v_cndmask_b32_e32 v3, 0, v8, vcc_lo
	v_cmp_ne_u32_e32 vcc_lo, 0, v9
	v_mov_b32_e32 v9, 0
	v_mov_b32_e32 v16, v3
	s_cbranch_vccz .LBB4_132
; %bb.126:                              ;   in Loop: Header=BB4_57 Depth=2
	s_and_saveexec_b32 s17, s16
	s_cbranch_execnz .LBB4_143
	s_branch .LBB4_151
.LBB4_127:                              ;   in Loop: Header=BB4_57 Depth=2
	s_mov_b32 s16, 0
	s_and_saveexec_b32 s17, s6
	s_cbranch_execnz .LBB4_152
.LBB4_128:                              ;   in Loop: Header=BB4_57 Depth=2
	s_or_b32 exec_lo, exec_lo, s17
                                        ; implicit-def: $vgpr3
	s_and_saveexec_b32 s17, s15
	s_xor_b32 s17, exec_lo, s17
	s_cbranch_execz .LBB4_170
.LBB4_129:                              ;   in Loop: Header=BB4_57 Depth=2
	v_and_b32_e32 v3, 16, v98
	v_cmp_ne_u32_e32 vcc_lo, 0, v3
	v_and_b32_e32 v3, 16, v98
	s_and_b32 s23, vcc_lo, s16
	s_and_saveexec_b32 s16, s23
	s_cbranch_execz .LBB4_131
; %bb.130:                              ;   in Loop: Header=BB4_57 Depth=2
	v_mov_b32_e32 v3, 1
	s_waitcnt vmcnt(0) lgkmcnt(0)
	s_waitcnt_vscnt null, 0x0
	buffer_gl1_inv
	buffer_gl0_inv
.LBB4_131:                              ;   in Loop: Header=BB4_57 Depth=2
	s_or_b32 exec_lo, exec_lo, s16
	s_andn2_saveexec_b32 s16, s17
	s_cbranch_execz .LBB4_189
	s_branch .LBB4_171
.LBB4_132:                              ;   in Loop: Header=BB4_57 Depth=2
	v_ashrrev_i32_e32 v9, 31, v3
	s_mov_b32 s17, exec_lo
	v_lshrrev_b32_e32 v9, 21, v9
	v_add_nc_u32_e32 v9, v3, v9
	v_ashrrev_i32_e32 v9, 11, v9
	v_sub_nc_u32_e32 v22, v9, v103
	v_cmpx_lt_i32_e32 0, v22
	s_cbranch_execz .LBB4_136
; %bb.133:                              ;   in Loop: Header=BB4_57 Depth=2
	v_mov_b32_e32 v17, v15
	v_mov_b32_e32 v19, v13
	;; [unrolled: 1-line block ×4, first 2 shown]
	s_mov_b32 s23, 0
	s_inst_prefetch 0x1
	.p2align	6
.LBB4_134:                              ;   Parent Loop BB4_47 Depth=1
                                        ;     Parent Loop BB4_57 Depth=2
                                        ; =>    This Inner Loop Header: Depth=3
	v_add_co_u32 v96, vcc_lo, v43, v18
	v_add_co_ci_u32_e64 v97, null, 0, v19, vcc_lo
	v_sub_nc_u32_e32 v22, v22, v101
	s_clause 0x3
	global_load_dwordx4 v[68:71], v[96:97], off slc
	global_load_dwordx4 v[80:83], v[96:97], off offset:512 slc
	global_load_dwordx4 v[84:87], v[96:97], off offset:1024 slc
	;; [unrolled: 1-line block ×3, first 2 shown]
	v_add_co_u32 v96, vcc_lo, v43, v16
	v_add_co_ci_u32_e64 v97, null, 0, v17, vcc_lo
	v_add_co_u32 v18, vcc_lo, v18, v116
	v_add_co_ci_u32_e64 v19, null, 0, v19, vcc_lo
	v_add_co_u32 v16, vcc_lo, v16, v116
	v_cmp_gt_i32_e64 s16, 1, v22
	v_add_co_ci_u32_e64 v17, null, 0, v17, vcc_lo
	s_waitcnt vmcnt(3)
	global_store_dwordx4 v[96:97], v[68:71], off glc slc
	s_waitcnt vmcnt(2)
	global_store_dwordx4 v[96:97], v[80:83], off offset:512 glc slc
	s_waitcnt vmcnt(1)
	global_store_dwordx4 v[96:97], v[84:87], off offset:1024 glc slc
	;; [unrolled: 2-line block ×3, first 2 shown]
	s_or_b32 s23, s16, s23
	s_andn2_b32 exec_lo, exec_lo, s23
	s_cbranch_execnz .LBB4_134
; %bb.135:                              ;   in Loop: Header=BB4_57 Depth=2
	s_inst_prefetch 0x2
	s_or_b32 exec_lo, exec_lo, s23
.LBB4_136:                              ;   in Loop: Header=BB4_57 Depth=2
	s_or_b32 exec_lo, exec_lo, s17
	v_lshlrev_b32_e32 v18, 11, v9
	v_mov_b32_e32 v9, 0
	s_mov_b32 s16, 0
	s_mov_b32 s23, exec_lo
                                        ; implicit-def: $vgpr16
                                        ; implicit-def: $vgpr17
	v_cmpx_ne_u32_e64 v3, v18
	s_cbranch_execz .LBB4_142
; %bb.137:                              ;   in Loop: Header=BB4_57 Depth=2
	v_lshlrev_b32_e32 v9, 5, v22
	v_sub_nc_u32_e32 v19, v3, v18
	s_mov_b32 s61, exec_lo
	v_sub_nc_u32_e32 v9, v102, v9
	v_ashrrev_i32_e32 v17, 31, v19
	v_ashrrev_i32_e32 v16, 31, v9
	v_lshrrev_b32_e32 v17, 23, v17
	v_lshrrev_b32_e32 v16, 27, v16
	v_add_nc_u32_e32 v23, v19, v17
	v_add_nc_u32_e32 v16, v9, v16
	v_ashrrev_i32_e32 v69, 9, v23
	v_and_b32_e32 v22, 0xffffffe0, v16
	v_ashrrev_i32_e32 v68, 5, v16
	v_sub_nc_u32_e32 v17, v9, v22
	v_and_b32_e32 v9, 0xfffffe00, v23
	v_lshlrev_b32_e32 v22, 4, v17
	v_sub_nc_u32_e32 v16, v19, v9
	v_lshl_add_u32 v23, v68, 9, v22
	v_cmp_lt_i32_e32 vcc_lo, 15, v16
	v_sub_nc_u32_e32 v22, v19, v23
	v_add_co_ci_u32_e64 v69, null, 0, v69, vcc_lo
	v_sub_nc_u32_e32 v19, v69, v68
	v_cmpx_lt_i32_e32 15, v22
	s_cbranch_execz .LBB4_141
; %bb.138:                              ;   in Loop: Header=BB4_57 Depth=2
	v_add_nc_u32_e32 v23, v23, v18
	s_mov_b32 s62, 0
	v_ashrrev_i32_e32 v68, 31, v23
	.p2align	6
.LBB4_139:                              ;   Parent Loop BB4_47 Depth=1
                                        ;     Parent Loop BB4_57 Depth=2
                                        ; =>    This Inner Loop Header: Depth=3
	v_add_co_u32 v69, s16, v12, v23
	v_add_co_ci_u32_e64 v70, null, v13, v68, s16
	v_sub_nc_u32_e32 v22, v22, v117
	v_sub_nc_u32_e32 v19, v19, v101
	global_load_dwordx4 v[80:83], v[69:70], off slc
	v_add_co_u32 v69, s16, v14, v23
	v_add_co_ci_u32_e64 v70, null, v15, v68, s16
	v_cmp_gt_i32_e64 s16, 16, v22
	v_add_co_u32 v23, s17, v23, v117
	v_add_co_ci_u32_e64 v68, null, 0, v68, s17
	s_or_b32 s62, s16, s62
	s_waitcnt vmcnt(0)
	global_store_dwordx4 v[69:70], v[80:83], off glc slc
	s_andn2_b32 exec_lo, exec_lo, s62
	s_cbranch_execnz .LBB4_139
; %bb.140:                              ;   in Loop: Header=BB4_57 Depth=2
	s_or_b32 exec_lo, exec_lo, s62
.LBB4_141:                              ;   in Loop: Header=BB4_57 Depth=2
	s_or_b32 exec_lo, exec_lo, s61
	v_and_b32_e32 v22, 15, v3
	v_cmp_lt_i32_e64 s16, 0, v19
	v_sub_nc_u32_e32 v23, v16, v22
	v_cndmask_b32_e64 v68, 0, v101, s16
	v_cndmask_b32_e32 v16, v16, v22, vcc_lo
	v_cndmask_b32_e32 v22, 0, v23, vcc_lo
	v_sub_nc_u32_e32 v19, v68, v19
	v_cmp_ne_u32_e32 vcc_lo, 0, v16
	v_add3_u32 v9, v9, v18, v22
	v_lshl_add_u32 v17, v19, 5, v17
	s_and_b32 s16, vcc_lo, exec_lo
.LBB4_142:                              ;   in Loop: Header=BB4_57 Depth=2
	s_or_b32 exec_lo, exec_lo, s23
	s_and_saveexec_b32 s17, s16
	s_cbranch_execz .LBB4_151
.LBB4_143:                              ;   in Loop: Header=BB4_57 Depth=2
	v_ashrrev_i32_e32 v18, 31, v17
	v_ashrrev_i32_e32 v19, 31, v16
	s_mov_b32 s16, exec_lo
	v_lshrrev_b32_e32 v18, 27, v18
	v_lshrrev_b32_e32 v19, 23, v19
	v_add_nc_u32_e32 v23, v17, v18
	v_add_nc_u32_e32 v19, v16, v19
	v_ashrrev_i32_e32 v18, 5, v23
	v_ashrrev_i32_e32 v22, 9, v19
	v_sub_nc_u32_e32 v19, v22, v18
	v_cmpx_lt_i32_e32 0, v19
	s_cbranch_execz .LBB4_147
; %bb.144:                              ;   in Loop: Header=BB4_57 Depth=2
	v_and_b32_e32 v23, 0xffffffe0, v23
	v_lshlrev_b32_e32 v68, 9, v18
	s_mov_b32 s23, 0
	v_sub_nc_u32_e32 v23, v17, v23
	v_add3_u32 v23, v9, v23, v68
	v_ashrrev_i32_e32 v68, 31, v23
.LBB4_145:                              ;   Parent Loop BB4_47 Depth=1
                                        ;     Parent Loop BB4_57 Depth=2
                                        ; =>    This Inner Loop Header: Depth=3
	v_add_co_u32 v69, vcc_lo, v23, v12
	v_add_co_ci_u32_e64 v70, null, v68, v13, vcc_lo
	v_sub_nc_u32_e32 v19, v19, v101
	s_clause 0xf
	flat_load_ubyte v71, v[69:70] slc
	flat_load_ubyte v80, v[69:70] offset:32 slc
	flat_load_ubyte v81, v[69:70] offset:64 slc
	;; [unrolled: 1-line block ×15, first 2 shown]
	v_add_co_u32 v69, vcc_lo, v23, v14
	v_add_co_ci_u32_e64 v70, null, v68, v15, vcc_lo
	v_add_co_u32 v12, vcc_lo, v12, v117
	v_add_co_ci_u32_e64 v13, null, 0, v13, vcc_lo
	;; [unrolled: 2-line block ×3, first 2 shown]
	v_cmp_gt_i32_e32 vcc_lo, 1, v19
	s_waitcnt vmcnt(15) lgkmcnt(15)
	flat_store_byte v[69:70], v71 glc slc
	s_waitcnt vmcnt(14) lgkmcnt(15)
	flat_store_byte v[69:70], v80 offset:32 glc slc
	s_waitcnt vmcnt(13) lgkmcnt(15)
	flat_store_byte v[69:70], v81 offset:64 glc slc
	;; [unrolled: 2-line block ×15, first 2 shown]
	s_or_b32 s23, vcc_lo, s23
	s_andn2_b32 exec_lo, exec_lo, s23
	s_cbranch_execnz .LBB4_145
; %bb.146:                              ;   in Loop: Header=BB4_57 Depth=2
	s_or_b32 exec_lo, exec_lo, s23
.LBB4_147:                              ;   in Loop: Header=BB4_57 Depth=2
	s_or_b32 exec_lo, exec_lo, s16
	v_lshlrev_b32_e32 v12, 9, v22
	v_cmp_ne_u32_e32 vcc_lo, v16, v12
	s_and_b32 exec_lo, exec_lo, vcc_lo
	s_cbranch_execz .LBB4_151
; %bb.148:                              ;   in Loop: Header=BB4_57 Depth=2
	v_lshlrev_b32_e32 v13, 5, v18
	v_lshlrev_b32_e32 v14, 5, v19
	v_sub_nc_u32_e32 v13, v17, v13
	v_sub_nc_u32_e32 v13, v13, v14
	v_add_nc_u32_e32 v15, v12, v13
	v_sub_nc_u32_e32 v14, v16, v15
	v_cmp_lt_i32_e32 vcc_lo, 0, v14
	s_and_b32 exec_lo, exec_lo, vcc_lo
	s_cbranch_execz .LBB4_151
; %bb.149:                              ;   in Loop: Header=BB4_57 Depth=2
	s_trap 2
	ds_read_b64 v[12:13], v0
	v_add_nc_u32_e32 v9, v15, v9
	s_mov_b32 s23, 0
	v_ashrrev_i32_e32 v15, 31, v9
	.p2align	6
.LBB4_150:                              ;   Parent Loop BB4_47 Depth=1
                                        ;     Parent Loop BB4_57 Depth=2
                                        ; =>    This Inner Loop Header: Depth=3
	s_waitcnt lgkmcnt(0)
	v_add_co_u32 v16, vcc_lo, v12, v9
	v_add_co_ci_u32_e64 v17, null, v13, v15, vcc_lo
	v_sub_nc_u32_e32 v14, v14, v112
	v_add_co_u32 v9, s16, v9, v112
	flat_load_ubyte v18, v[16:17] slc
	v_add_co_ci_u32_e64 v15, null, 0, v15, s16
	v_cmp_gt_i32_e32 vcc_lo, 1, v14
	s_or_b32 s23, vcc_lo, s23
	s_waitcnt vmcnt(0) lgkmcnt(0)
	flat_store_byte v[16:17], v18 glc slc
	s_andn2_b32 exec_lo, exec_lo, s23
	s_cbranch_execnz .LBB4_150
.LBB4_151:                              ;   in Loop: Header=BB4_57 Depth=2
	s_or_b32 exec_lo, exec_lo, s17
	v_cmp_lt_i32_e64 s16, 0, v3
	s_and_saveexec_b32 s17, s6
	s_cbranch_execz .LBB4_128
.LBB4_152:                              ;   in Loop: Header=BB4_57 Depth=2
	s_and_saveexec_b32 s23, s29
	s_xor_b32 s23, exec_lo, s23
	s_cbranch_execz .LBB4_167
; %bb.153:                              ;   in Loop: Header=BB4_57 Depth=2
	s_and_saveexec_b32 s61, s11
	s_cbranch_execz .LBB4_166
; %bb.154:                              ;   in Loop: Header=BB4_57 Depth=2
	s_mov_b32 s63, exec_lo
	s_mov_b32 s62, exec_lo
	v_mbcnt_lo_u32_b32 v3, s63, 0
	s_waitcnt vmcnt(0) lgkmcnt(0)
	s_waitcnt_vscnt null, 0x0
	buffer_gl1_inv
	buffer_gl0_inv
	v_cmpx_eq_u32_e32 0, v3
	s_cbranch_execz .LBB4_156
; %bb.155:                              ;   in Loop: Header=BB4_57 Depth=2
	s_bcnt1_i32_b32 s63, s63
	v_mov_b32_e32 v13, v2
	v_mov_b32_e32 v12, s63
	ds_add_u64 v0, v[12:13]
	s_trap 2
.LBB4_156:                              ;   in Loop: Header=BB4_57 Depth=2
	s_or_b32 exec_lo, exec_lo, s62
	s_trap 2
	ds_read_b64 v[12:13], v0
	s_waitcnt lgkmcnt(0)
	buffer_gl0_inv
	v_add_co_u32 v38, vcc_lo, v38, v101
	v_add_co_ci_u32_e64 v39, null, 0, v39, vcc_lo
	s_mov_b32 s62, exec_lo
	v_cmpx_lt_u64_e64 v[12:13], v[38:39]
	s_cbranch_execz .LBB4_165
; %bb.157:                              ;   in Loop: Header=BB4_57 Depth=2
	s_mov_b32 s63, 0
	s_mov_b32 s74, 0
                                        ; implicit-def: $sgpr72
                                        ; implicit-def: $sgpr73
	s_inst_prefetch 0x1
	s_branch .LBB4_159
	.p2align	6
.LBB4_158:                              ;   in Loop: Header=BB4_159 Depth=3
	s_or_b32 exec_lo, exec_lo, s76
	s_and_b32 s75, exec_lo, s77
	s_or_b32 s63, s75, s63
	s_andn2_b32 s72, s72, exec_lo
	s_and_b32 s75, s73, exec_lo
	s_or_b32 s72, s72, s75
	s_andn2_b32 exec_lo, exec_lo, s63
	s_cbranch_execz .LBB4_163
.LBB4_159:                              ;   Parent Loop BB4_47 Depth=1
                                        ;     Parent Loop BB4_57 Depth=2
                                        ; =>    This Inner Loop Header: Depth=3
	s_add_i32 s74, s74, 1
	s_cmpk_lg_i32 s74, 0x2710
	s_cselect_b32 s75, -1, 0
	s_and_b32 vcc_lo, exec_lo, s75
	s_cbranch_vccz .LBB4_161
; %bb.160:                              ;   in Loop: Header=BB4_159 Depth=3
	s_mov_b32 s77, -1
	s_or_b32 s73, s73, exec_lo
	s_and_saveexec_b32 s76, s75
	s_cbranch_execz .LBB4_158
	s_branch .LBB4_162
	.p2align	6
.LBB4_161:                              ;   in Loop: Header=BB4_159 Depth=3
	s_trap 2
	ds_read_b64 v[12:13], v0
	s_andn2_b32 s75, s75, exec_lo
	s_mov_b32 s74, 0
	s_waitcnt lgkmcnt(0)
	flat_load_dword v3, v[12:13] glc dlc
	s_waitcnt vmcnt(0) lgkmcnt(0)
	buffer_gl1_inv
	buffer_gl0_inv
	v_cmp_eq_u32_e32 vcc_lo, 0, v3
	s_and_b32 s76, vcc_lo, exec_lo
	s_or_b32 s75, s75, s76
	s_mov_b32 s77, -1
	s_or_b32 s73, s73, exec_lo
	s_and_saveexec_b32 s76, s75
	s_cbranch_execz .LBB4_158
.LBB4_162:                              ;   in Loop: Header=BB4_159 Depth=3
	s_sleep 1
	s_trap 2
	ds_read_b64 v[12:13], v0
	s_waitcnt lgkmcnt(0)
	buffer_gl0_inv
	s_andn2_b32 s73, s73, exec_lo
	v_cmp_ge_u64_e32 vcc_lo, v[12:13], v[38:39]
	s_orn2_b32 s77, vcc_lo, exec_lo
	s_branch .LBB4_158
.LBB4_163:                              ;   in Loop: Header=BB4_57 Depth=2
	s_inst_prefetch 0x2
	s_or_b32 exec_lo, exec_lo, s63
	s_and_saveexec_b32 s63, s72
	s_xor_b32 s63, exec_lo, s63
	s_cbranch_execz .LBB4_165
; %bb.164:                              ;   in Loop: Header=BB4_57 Depth=2
	ds_write_b32 v0, v113
	s_trap 2
.LBB4_165:                              ;   in Loop: Header=BB4_57 Depth=2
	s_or_b32 exec_lo, exec_lo, s62
	;;#ASMSTART
	s_wakeup
	;;#ASMEND
.LBB4_166:                              ;   in Loop: Header=BB4_57 Depth=2
	s_or_b32 exec_lo, exec_lo, s61
.LBB4_167:                              ;   in Loop: Header=BB4_57 Depth=2
	s_andn2_saveexec_b32 s23, s23
	s_cbranch_execz .LBB4_169
; %bb.168:                              ;   in Loop: Header=BB4_57 Depth=2
	s_waitcnt vmcnt(0) lgkmcnt(0)
	s_waitcnt_vscnt null, 0x0
	buffer_gl1_inv
	buffer_gl0_inv
	s_barrier
.LBB4_169:                              ;   in Loop: Header=BB4_57 Depth=2
	s_or_b32 exec_lo, exec_lo, s23
	s_or_b32 exec_lo, exec_lo, s17
                                        ; implicit-def: $vgpr3
	s_and_saveexec_b32 s17, s15
	s_xor_b32 s17, exec_lo, s17
	s_cbranch_execnz .LBB4_129
.LBB4_170:                              ;   in Loop: Header=BB4_57 Depth=2
	s_andn2_saveexec_b32 s16, s17
	s_cbranch_execz .LBB4_189
.LBB4_171:                              ;   in Loop: Header=BB4_57 Depth=2
	s_and_saveexec_b32 s17, s29
	s_xor_b32 s17, exec_lo, s17
	s_cbranch_execz .LBB4_186
; %bb.172:                              ;   in Loop: Header=BB4_57 Depth=2
	s_and_saveexec_b32 s23, s11
	s_cbranch_execz .LBB4_185
; %bb.173:                              ;   in Loop: Header=BB4_57 Depth=2
	s_mov_b32 s62, exec_lo
	s_mov_b32 s61, exec_lo
	v_mbcnt_lo_u32_b32 v3, s62, 0
	;;#ASMSTART
	s_waitcnt lgkmcnt(0) vmcnt(0)
	;;#ASMEND
	v_cmpx_eq_u32_e32 0, v3
	s_cbranch_execz .LBB4_175
; %bb.174:                              ;   in Loop: Header=BB4_57 Depth=2
	s_bcnt1_i32_b32 s62, s62
	v_mov_b32_e32 v13, v2
	v_mov_b32_e32 v12, s62
	s_waitcnt vmcnt(0) lgkmcnt(0)
	s_waitcnt_vscnt null, 0x0
	ds_add_u64 v0, v[12:13]
	s_trap 2
.LBB4_175:                              ;   in Loop: Header=BB4_57 Depth=2
	s_or_b32 exec_lo, exec_lo, s61
	s_trap 2
	ds_read_b64 v[12:13], v0
	s_waitcnt vmcnt(0) lgkmcnt(0)
	buffer_gl0_inv
	v_add_co_u32 v38, vcc_lo, v38, v101
	v_add_co_ci_u32_e64 v39, null, 0, v39, vcc_lo
	s_mov_b32 s61, exec_lo
	v_cmpx_lt_u64_e64 v[12:13], v[38:39]
	s_cbranch_execz .LBB4_184
; %bb.176:                              ;   in Loop: Header=BB4_57 Depth=2
	s_mov_b32 s62, 0
	s_mov_b32 s73, 0
                                        ; implicit-def: $sgpr63
                                        ; implicit-def: $sgpr72
	s_inst_prefetch 0x1
	s_branch .LBB4_178
	.p2align	6
.LBB4_177:                              ;   in Loop: Header=BB4_178 Depth=3
	s_or_b32 exec_lo, exec_lo, s75
	s_and_b32 s74, exec_lo, s76
	s_or_b32 s62, s74, s62
	s_andn2_b32 s63, s63, exec_lo
	s_and_b32 s74, s72, exec_lo
	s_or_b32 s63, s63, s74
	s_andn2_b32 exec_lo, exec_lo, s62
	s_cbranch_execz .LBB4_182
.LBB4_178:                              ;   Parent Loop BB4_47 Depth=1
                                        ;     Parent Loop BB4_57 Depth=2
                                        ; =>    This Inner Loop Header: Depth=3
	s_add_i32 s73, s73, 1
	s_cmpk_lg_i32 s73, 0x2710
	s_cselect_b32 s74, -1, 0
	s_and_b32 vcc_lo, exec_lo, s74
	s_cbranch_vccz .LBB4_180
; %bb.179:                              ;   in Loop: Header=BB4_178 Depth=3
	s_mov_b32 s76, -1
	s_or_b32 s72, s72, exec_lo
	s_and_saveexec_b32 s75, s74
	s_cbranch_execz .LBB4_177
	s_branch .LBB4_181
	.p2align	6
.LBB4_180:                              ;   in Loop: Header=BB4_178 Depth=3
	s_trap 2
	ds_read_b64 v[12:13], v0
	s_andn2_b32 s74, s74, exec_lo
	s_mov_b32 s73, 0
	s_waitcnt lgkmcnt(0)
	s_waitcnt_vscnt null, 0x0
	flat_load_dword v3, v[12:13] glc dlc
	s_waitcnt vmcnt(0) lgkmcnt(0)
	buffer_gl1_inv
	buffer_gl0_inv
	v_cmp_eq_u32_e32 vcc_lo, 0, v3
	s_and_b32 s75, vcc_lo, exec_lo
	s_or_b32 s74, s74, s75
	s_mov_b32 s76, -1
	s_or_b32 s72, s72, exec_lo
	s_and_saveexec_b32 s75, s74
	s_cbranch_execz .LBB4_177
.LBB4_181:                              ;   in Loop: Header=BB4_178 Depth=3
	s_sleep 1
	s_trap 2
	ds_read_b64 v[12:13], v0
	s_waitcnt lgkmcnt(0)
	buffer_gl0_inv
	s_andn2_b32 s72, s72, exec_lo
	v_cmp_ge_u64_e32 vcc_lo, v[12:13], v[38:39]
	s_orn2_b32 s76, vcc_lo, exec_lo
	s_branch .LBB4_177
.LBB4_182:                              ;   in Loop: Header=BB4_57 Depth=2
	s_inst_prefetch 0x2
	s_or_b32 exec_lo, exec_lo, s62
	s_and_saveexec_b32 s62, s63
	s_xor_b32 s62, exec_lo, s62
	s_cbranch_execz .LBB4_184
; %bb.183:                              ;   in Loop: Header=BB4_57 Depth=2
	ds_write_b32 v0, v113
	s_trap 2
.LBB4_184:                              ;   in Loop: Header=BB4_57 Depth=2
	s_or_b32 exec_lo, exec_lo, s61
	;;#ASMSTART
	s_wakeup
	;;#ASMEND
.LBB4_185:                              ;   in Loop: Header=BB4_57 Depth=2
	s_or_b32 exec_lo, exec_lo, s23
.LBB4_186:                              ;   in Loop: Header=BB4_57 Depth=2
	s_andn2_saveexec_b32 s17, s17
	s_cbranch_execz .LBB4_188
; %bb.187:                              ;   in Loop: Header=BB4_57 Depth=2
	;;#ASMSTART
	s_waitcnt lgkmcnt(0) vmcnt(0)
	;;#ASMEND
	s_barrier
.LBB4_188:                              ;   in Loop: Header=BB4_57 Depth=2
	s_or_b32 exec_lo, exec_lo, s17
	v_and_b32_e32 v3, 16, v98
.LBB4_189:                              ;   in Loop: Header=BB4_57 Depth=2
	s_or_b32 exec_lo, exec_lo, s16
	s_mov_b32 s16, exec_lo
	v_cmpx_ne_u32_e32 0, v3
	s_cbranch_execz .LBB4_56
; %bb.190:                              ;   in Loop: Header=BB4_57 Depth=2
	s_and_saveexec_b32 s17, s10
	s_cbranch_execz .LBB4_55
; %bb.191:                              ;   in Loop: Header=BB4_57 Depth=2
	s_waitcnt vmcnt(0) lgkmcnt(0)
	s_waitcnt_vscnt null, 0x0
	flat_store_dword v[36:37], v113
	s_branch .LBB4_55
.LBB4_192:                              ;   in Loop: Header=BB4_47 Depth=1
	s_or_b32 exec_lo, exec_lo, s19
.LBB4_193:                              ;   in Loop: Header=BB4_47 Depth=1
	s_or_b32 exec_lo, exec_lo, s18
	s_mov_b32 s17, exec_lo
	v_cmpx_gt_i32_e32 2, v3
	s_cbranch_execz .LBB4_265
; %bb.194:                              ;   in Loop: Header=BB4_47 Depth=1
	v_cmp_eq_u32_e64 s19, 0, v3
	s_mov_b32 s18, 0
	s_branch .LBB4_197
.LBB4_195:                              ;   in Loop: Header=BB4_197 Depth=2
	s_or_b32 exec_lo, exec_lo, s19
	v_add_co_u32 v64, vcc_lo, v64, 2
	v_add_co_ci_u32_e64 v65, null, 0, v65, vcc_lo
	s_waitcnt vmcnt(0) lgkmcnt(0)
	s_waitcnt_vscnt null, 0x0
	flat_store_dwordx2 v[32:33], v[64:65]
.LBB4_196:                              ;   in Loop: Header=BB4_197 Depth=2
	s_or_b32 exec_lo, exec_lo, s16
	v_add_nc_u32_e32 v21, v8, v21
	s_mov_b32 s19, 0
	s_andn2_b32 exec_lo, exec_lo, s18
	s_cbranch_execz .LBB4_264
.LBB4_197:                              ;   Parent Loop BB4_47 Depth=1
                                        ; =>  This Loop Header: Depth=2
                                        ;       Child Loop BB4_203 Depth 3
                                        ;       Child Loop BB4_227 Depth 3
	;; [unrolled: 1-line block ×3, first 2 shown]
	v_sub_nc_u32_e32 v3, v20, v21
	v_and_b32_e32 v9, 8, v98
	s_mov_b32 s20, exec_lo
	v_min_i32_e32 v8, v8, v3
	v_cmpx_ne_u32_e32 0, v9
	s_cbranch_execz .LBB4_219
; %bb.198:                              ;   in Loop: Header=BB4_197 Depth=2
	s_waitcnt vmcnt(0) lgkmcnt(1)
	v_add_co_u32 v12, vcc_lo, v48, 8
	v_add_co_ci_u32_e64 v13, null, 0, v49, vcc_lo
	v_add_co_u32 v10, vcc_lo, v64, 2
	v_add_co_ci_u32_e64 v11, null, 0, v65, vcc_lo
	s_mov_b32 s21, exec_lo
	v_cmpx_lt_u64_e64 v[12:13], v[10:11]
	s_cbranch_execz .LBB4_210
; %bb.199:                              ;   in Loop: Header=BB4_197 Depth=2
	v_and_b32_e32 v3, 64, v98
	s_mov_b32 s23, 0
	s_mov_b32 s72, 0
                                        ; implicit-def: $sgpr61
                                        ; implicit-def: $sgpr62
                                        ; implicit-def: $sgpr63
	v_cmp_eq_u32_e32 vcc_lo, 0, v3
	s_branch .LBB4_203
.LBB4_200:                              ;   in Loop: Header=BB4_203 Depth=3
	s_waitcnt vmcnt(0) lgkmcnt(0)
	v_add_co_u32 v12, s16, v48, 8
	v_add_co_ci_u32_e64 v13, null, 0, v49, s16
	s_or_b32 s75, s75, exec_lo
	v_cmp_ge_u64_e64 s16, v[12:13], v[10:11]
	s_orn2_b32 s74, s16, exec_lo
.LBB4_201:                              ;   in Loop: Header=BB4_203 Depth=3
	s_or_b32 exec_lo, exec_lo, s77
	s_andn2_b32 s16, s63, exec_lo
	s_and_b32 s63, s75, exec_lo
	s_andn2_b32 s62, s62, exec_lo
	s_and_b32 s74, s74, exec_lo
	s_or_b32 s63, s16, s63
	s_or_b32 s62, s62, s74
.LBB4_202:                              ;   in Loop: Header=BB4_203 Depth=3
	s_or_b32 exec_lo, exec_lo, s73
	s_and_b32 s16, exec_lo, s62
	s_or_b32 s23, s16, s23
	s_andn2_b32 s16, s61, exec_lo
	s_and_b32 s61, s63, exec_lo
	s_or_b32 s61, s16, s61
	s_andn2_b32 exec_lo, exec_lo, s23
	s_cbranch_execz .LBB4_207
.LBB4_203:                              ;   Parent Loop BB4_47 Depth=1
                                        ;     Parent Loop BB4_197 Depth=2
                                        ; =>    This Inner Loop Header: Depth=3
	s_sleep 1
	s_waitcnt vmcnt(0) lgkmcnt(0)
	flat_load_dwordx2 v[48:49], v[32:33] glc dlc
	s_or_b32 s63, s63, exec_lo
	s_or_b32 s62, s62, exec_lo
                                        ; implicit-def: $vgpr3
	s_and_saveexec_b32 s73, vcc_lo
	s_cbranch_execz .LBB4_202
; %bb.204:                              ;   in Loop: Header=BB4_203 Depth=3
	s_cmpk_lt_i32 s72, 0x270f
	s_mov_b32 s74, -1
	s_cselect_b32 s76, -1, 0
	s_cmpk_gt_i32 s72, 0x270e
	s_cbranch_scc0 .LBB4_206
; %bb.205:                              ;   in Loop: Header=BB4_203 Depth=3
	s_trap 2
	ds_read_b64 v[12:13], v0
	s_andn2_b32 s72, s76, exec_lo
	s_mov_b32 s75, 0
	s_waitcnt vmcnt(0) lgkmcnt(0)
	s_waitcnt_vscnt null, 0x0
	flat_load_dword v3, v[12:13] glc dlc
	s_waitcnt vmcnt(0) lgkmcnt(0)
	buffer_gl1_inv
	buffer_gl0_inv
	v_cmp_eq_u32_e64 s16, 0, v3
	s_and_b32 s16, s16, exec_lo
	s_or_b32 s76, s72, s16
	s_mov_b32 s72, 0
	s_and_saveexec_b32 s77, s76
	s_cbranch_execz .LBB4_201
	s_branch .LBB4_200
.LBB4_206:                              ;   in Loop: Header=BB4_203 Depth=3
	s_add_i32 s72, s72, 1
	s_mov_b32 s75, -1
                                        ; implicit-def: $vgpr3
	s_and_saveexec_b32 s77, s76
	s_cbranch_execz .LBB4_201
	s_branch .LBB4_200
.LBB4_207:                              ;   in Loop: Header=BB4_197 Depth=2
	s_or_b32 exec_lo, exec_lo, s23
	s_xor_b32 s16, s61, -1
	s_and_saveexec_b32 s23, s16
	s_xor_b32 s16, exec_lo, s23
	s_cbranch_execz .LBB4_209
; %bb.208:                              ;   in Loop: Header=BB4_197 Depth=2
	v_or_b32_e32 v98, 64, v98
	s_waitcnt vmcnt(0) lgkmcnt(0)
	s_waitcnt_vscnt null, 0x0
	ds_write_b32 v0, v3
	s_trap 2
.LBB4_209:                              ;   in Loop: Header=BB4_197 Depth=2
	s_or_b32 exec_lo, exec_lo, s16
.LBB4_210:                              ;   in Loop: Header=BB4_197 Depth=2
	s_or_b32 exec_lo, exec_lo, s21
	v_and_b32_e32 v3, 0x100, v98
	s_mov_b32 s16, -1
	;;#ASMSTART
	s_wakeup
	;;#ASMEND
                                        ; implicit-def: $vgpr12_vgpr13
	v_cmp_ne_u32_e32 vcc_lo, 0, v3
	v_and_b32_e32 v3, 7, v64
	s_and_saveexec_b32 s21, vcc_lo
	s_cbranch_execz .LBB4_214
; %bb.211:                              ;   in Loop: Header=BB4_197 Depth=2
	v_mad_u64_u32 v[14:15], null, v3, 24, v[6:7]
	v_ashrrev_i32_e32 v9, 31, v8
	flat_load_dword v12, v[14:15]
	flat_store_dwordx2 v[14:15], v[8:9] offset:8
	s_waitcnt vmcnt(0) lgkmcnt(1)
	v_cmp_eq_u32_e64 s16, 1, v12
	v_cmp_ne_u32_e32 vcc_lo, 1, v12
                                        ; implicit-def: $vgpr12_vgpr13
	s_and_saveexec_b32 s23, s16
	s_cbranch_execz .LBB4_213
; %bb.212:                              ;   in Loop: Header=BB4_197 Depth=2
	flat_load_dword v12, v[14:15] offset:4 glc dlc
	s_waitcnt vmcnt(0) lgkmcnt(0)
	v_ashrrev_i32_e32 v13, 31, v12
.LBB4_213:                              ;   in Loop: Header=BB4_197 Depth=2
	s_or_b32 exec_lo, exec_lo, s23
	s_orn2_b32 s16, vcc_lo, exec_lo
.LBB4_214:                              ;   in Loop: Header=BB4_197 Depth=2
	s_or_b32 exec_lo, exec_lo, s21
	s_and_saveexec_b32 s21, s16
; %bb.215:                              ;   in Loop: Header=BB4_197 Depth=2
	v_mad_i64_i32 v[12:13], null, v3, v99, 0
; %bb.216:                              ;   in Loop: Header=BB4_197 Depth=2
	s_or_b32 exec_lo, exec_lo, s21
	v_add_co_u32 v12, vcc_lo, v34, v12
	v_and_b32_e32 v3, 0x2000, v98
	v_add_co_ci_u32_e64 v13, null, v35, v13, vcc_lo
	s_mov_b32 s16, exec_lo
	ds_write_b64 v0, v[12:13] offset:784
	v_cmpx_ne_u32_e32 0, v3
	s_cbranch_execz .LBB4_218
; %bb.217:                              ;   in Loop: Header=BB4_197 Depth=2
	ds_read_b64 v[12:13], v0 offset:872
	s_waitcnt lgkmcnt(0)
	v_add_co_u32 v12, vcc_lo, v12, 1
	v_add_co_ci_u32_e64 v13, null, 0, v13, vcc_lo
	ds_write_b64 v0, v[12:13] offset:872
.LBB4_218:                              ;   in Loop: Header=BB4_197 Depth=2
	s_or_b32 exec_lo, exec_lo, s16
	v_mov_b32_e32 v65, v11
	v_mov_b32_e32 v64, v10
.LBB4_219:                              ;   in Loop: Header=BB4_197 Depth=2
	s_or_b32 exec_lo, exec_lo, s20
	s_xor_b32 s16, s19, -1
	s_and_b32 s16, exec_lo, s16
	s_or_b32 s18, s16, s18
	s_and_saveexec_b32 s16, s6
	s_cbranch_execz .LBB4_238
; %bb.220:                              ;   in Loop: Header=BB4_197 Depth=2
	s_and_saveexec_b32 s19, s29
	s_xor_b32 s19, exec_lo, s19
	s_cbranch_execz .LBB4_235
; %bb.221:                              ;   in Loop: Header=BB4_197 Depth=2
	s_and_saveexec_b32 s20, s11
	s_cbranch_execz .LBB4_234
; %bb.222:                              ;   in Loop: Header=BB4_197 Depth=2
	s_mov_b32 s23, exec_lo
	s_mov_b32 s21, exec_lo
	v_mbcnt_lo_u32_b32 v3, s23, 0
	s_waitcnt vmcnt(0) lgkmcnt(0)
	s_waitcnt_vscnt null, 0x0
	buffer_gl1_inv
	buffer_gl0_inv
	v_cmpx_eq_u32_e32 0, v3
	s_cbranch_execz .LBB4_224
; %bb.223:                              ;   in Loop: Header=BB4_197 Depth=2
	s_bcnt1_i32_b32 s23, s23
	v_mov_b32_e32 v10, v2
	v_mov_b32_e32 v9, s23
	ds_add_u64 v0, v[9:10]
	s_trap 2
.LBB4_224:                              ;   in Loop: Header=BB4_197 Depth=2
	s_or_b32 exec_lo, exec_lo, s21
	s_trap 2
	ds_read_b64 v[9:10], v0
	s_waitcnt lgkmcnt(0)
	buffer_gl0_inv
	v_add_co_u32 v38, vcc_lo, v38, v101
	v_add_co_ci_u32_e64 v39, null, 0, v39, vcc_lo
	s_mov_b32 s21, exec_lo
	v_cmpx_lt_u64_e64 v[9:10], v[38:39]
	s_cbranch_execz .LBB4_233
; %bb.225:                              ;   in Loop: Header=BB4_197 Depth=2
	s_mov_b32 s23, 0
	s_mov_b32 s63, 0
                                        ; implicit-def: $sgpr61
                                        ; implicit-def: $sgpr62
	s_inst_prefetch 0x1
	s_branch .LBB4_227
	.p2align	6
.LBB4_226:                              ;   in Loop: Header=BB4_227 Depth=3
	s_or_b32 exec_lo, exec_lo, s73
	s_and_b32 s72, exec_lo, s74
	s_or_b32 s23, s72, s23
	s_andn2_b32 s61, s61, exec_lo
	s_and_b32 s72, s62, exec_lo
	s_or_b32 s61, s61, s72
	s_andn2_b32 exec_lo, exec_lo, s23
	s_cbranch_execz .LBB4_231
.LBB4_227:                              ;   Parent Loop BB4_47 Depth=1
                                        ;     Parent Loop BB4_197 Depth=2
                                        ; =>    This Inner Loop Header: Depth=3
	s_add_i32 s63, s63, 1
	s_cmpk_lg_i32 s63, 0x2710
	s_cselect_b32 s72, -1, 0
	s_and_b32 vcc_lo, exec_lo, s72
	s_cbranch_vccz .LBB4_229
; %bb.228:                              ;   in Loop: Header=BB4_227 Depth=3
	s_mov_b32 s74, -1
	s_or_b32 s62, s62, exec_lo
	s_and_saveexec_b32 s73, s72
	s_cbranch_execz .LBB4_226
	s_branch .LBB4_230
	.p2align	6
.LBB4_229:                              ;   in Loop: Header=BB4_227 Depth=3
	s_trap 2
	ds_read_b64 v[9:10], v0
	s_andn2_b32 s72, s72, exec_lo
	s_mov_b32 s63, 0
	s_waitcnt lgkmcnt(0)
	flat_load_dword v3, v[9:10] glc dlc
	s_waitcnt vmcnt(0) lgkmcnt(0)
	buffer_gl1_inv
	buffer_gl0_inv
	v_cmp_eq_u32_e32 vcc_lo, 0, v3
	s_and_b32 s73, vcc_lo, exec_lo
	s_or_b32 s72, s72, s73
	s_mov_b32 s74, -1
	s_or_b32 s62, s62, exec_lo
	s_and_saveexec_b32 s73, s72
	s_cbranch_execz .LBB4_226
.LBB4_230:                              ;   in Loop: Header=BB4_227 Depth=3
	s_sleep 1
	s_trap 2
	ds_read_b64 v[9:10], v0
	s_waitcnt lgkmcnt(0)
	buffer_gl0_inv
	s_andn2_b32 s62, s62, exec_lo
	v_cmp_ge_u64_e32 vcc_lo, v[9:10], v[38:39]
	s_orn2_b32 s74, vcc_lo, exec_lo
	s_branch .LBB4_226
.LBB4_231:                              ;   in Loop: Header=BB4_197 Depth=2
	s_inst_prefetch 0x2
	s_or_b32 exec_lo, exec_lo, s23
	s_and_saveexec_b32 s23, s61
	s_xor_b32 s23, exec_lo, s23
	s_cbranch_execz .LBB4_233
; %bb.232:                              ;   in Loop: Header=BB4_197 Depth=2
	ds_write_b32 v0, v113
	s_trap 2
.LBB4_233:                              ;   in Loop: Header=BB4_197 Depth=2
	s_or_b32 exec_lo, exec_lo, s21
	;;#ASMSTART
	s_wakeup
	;;#ASMEND
.LBB4_234:                              ;   in Loop: Header=BB4_197 Depth=2
	s_or_b32 exec_lo, exec_lo, s20
.LBB4_235:                              ;   in Loop: Header=BB4_197 Depth=2
	s_andn2_saveexec_b32 s19, s19
	s_cbranch_execz .LBB4_237
; %bb.236:                              ;   in Loop: Header=BB4_197 Depth=2
	s_waitcnt vmcnt(0) lgkmcnt(0)
	s_waitcnt_vscnt null, 0x0
	buffer_gl1_inv
	buffer_gl0_inv
	s_barrier
.LBB4_237:                              ;   in Loop: Header=BB4_197 Depth=2
	s_or_b32 exec_lo, exec_lo, s19
.LBB4_238:                              ;   in Loop: Header=BB4_197 Depth=2
	s_or_b32 exec_lo, exec_lo, s16
                                        ; implicit-def: $vgpr3
	s_and_saveexec_b32 s16, s15
	s_xor_b32 s19, exec_lo, s16
	s_cbranch_execz .LBB4_242
; %bb.239:                              ;   in Loop: Header=BB4_197 Depth=2
	s_trap 2
	ds_read_b32 v3, v0
	v_cmp_lt_i32_e32 vcc_lo, 0, v8
	s_waitcnt lgkmcnt(0)
	v_readfirstlane_b32 s16, v3
	v_and_b32_e32 v3, 16, v98
	s_cmp_eq_u32 s16, 0
	v_cmp_ne_u32_e64 s16, 0, v3
	s_cselect_b32 s20, -1, 0
	v_and_b32_e32 v3, 16, v98
	s_and_b32 s20, vcc_lo, s20
	s_and_b32 s20, s16, s20
	s_and_saveexec_b32 s16, s20
	s_cbranch_execz .LBB4_241
; %bb.240:                              ;   in Loop: Header=BB4_197 Depth=2
	v_mov_b32_e32 v3, 1
	s_waitcnt vmcnt(0)
	s_waitcnt_vscnt null, 0x0
	buffer_gl1_inv
	buffer_gl0_inv
.LBB4_241:                              ;   in Loop: Header=BB4_197 Depth=2
	s_or_b32 exec_lo, exec_lo, s16
	s_andn2_saveexec_b32 s16, s19
	s_cbranch_execz .LBB4_261
	s_branch .LBB4_243
.LBB4_242:                              ;   in Loop: Header=BB4_197 Depth=2
	s_andn2_saveexec_b32 s16, s19
	s_cbranch_execz .LBB4_261
.LBB4_243:                              ;   in Loop: Header=BB4_197 Depth=2
	s_and_saveexec_b32 s19, s29
	s_xor_b32 s19, exec_lo, s19
	s_cbranch_execz .LBB4_258
; %bb.244:                              ;   in Loop: Header=BB4_197 Depth=2
	s_and_saveexec_b32 s20, s11
	s_cbranch_execz .LBB4_257
; %bb.245:                              ;   in Loop: Header=BB4_197 Depth=2
	s_mov_b32 s23, exec_lo
	s_mov_b32 s21, exec_lo
	v_mbcnt_lo_u32_b32 v3, s23, 0
	;;#ASMSTART
	s_waitcnt lgkmcnt(0) vmcnt(0)
	;;#ASMEND
	v_cmpx_eq_u32_e32 0, v3
	s_cbranch_execz .LBB4_247
; %bb.246:                              ;   in Loop: Header=BB4_197 Depth=2
	s_bcnt1_i32_b32 s23, s23
	v_mov_b32_e32 v10, v2
	v_mov_b32_e32 v9, s23
	s_waitcnt vmcnt(0) lgkmcnt(0)
	s_waitcnt_vscnt null, 0x0
	ds_add_u64 v0, v[9:10]
	s_trap 2
.LBB4_247:                              ;   in Loop: Header=BB4_197 Depth=2
	s_or_b32 exec_lo, exec_lo, s21
	s_trap 2
	ds_read_b64 v[9:10], v0
	s_waitcnt vmcnt(0) lgkmcnt(0)
	buffer_gl0_inv
	v_add_co_u32 v38, vcc_lo, v38, v101
	v_add_co_ci_u32_e64 v39, null, 0, v39, vcc_lo
	s_mov_b32 s21, exec_lo
	v_cmpx_lt_u64_e64 v[9:10], v[38:39]
	s_cbranch_execz .LBB4_256
; %bb.248:                              ;   in Loop: Header=BB4_197 Depth=2
	s_mov_b32 s23, 0
	s_mov_b32 s63, 0
                                        ; implicit-def: $sgpr61
                                        ; implicit-def: $sgpr62
	s_inst_prefetch 0x1
	s_branch .LBB4_250
	.p2align	6
.LBB4_249:                              ;   in Loop: Header=BB4_250 Depth=3
	s_or_b32 exec_lo, exec_lo, s73
	s_and_b32 s72, exec_lo, s74
	s_or_b32 s23, s72, s23
	s_andn2_b32 s61, s61, exec_lo
	s_and_b32 s72, s62, exec_lo
	s_or_b32 s61, s61, s72
	s_andn2_b32 exec_lo, exec_lo, s23
	s_cbranch_execz .LBB4_254
.LBB4_250:                              ;   Parent Loop BB4_47 Depth=1
                                        ;     Parent Loop BB4_197 Depth=2
                                        ; =>    This Inner Loop Header: Depth=3
	s_add_i32 s63, s63, 1
	s_cmpk_lg_i32 s63, 0x2710
	s_cselect_b32 s72, -1, 0
	s_and_b32 vcc_lo, exec_lo, s72
	s_cbranch_vccz .LBB4_252
; %bb.251:                              ;   in Loop: Header=BB4_250 Depth=3
	s_mov_b32 s74, -1
	s_or_b32 s62, s62, exec_lo
	s_and_saveexec_b32 s73, s72
	s_cbranch_execz .LBB4_249
	s_branch .LBB4_253
	.p2align	6
.LBB4_252:                              ;   in Loop: Header=BB4_250 Depth=3
	s_trap 2
	ds_read_b64 v[9:10], v0
	s_andn2_b32 s72, s72, exec_lo
	s_mov_b32 s63, 0
	s_waitcnt lgkmcnt(0)
	s_waitcnt_vscnt null, 0x0
	flat_load_dword v3, v[9:10] glc dlc
	s_waitcnt vmcnt(0) lgkmcnt(0)
	buffer_gl1_inv
	buffer_gl0_inv
	v_cmp_eq_u32_e32 vcc_lo, 0, v3
	s_and_b32 s73, vcc_lo, exec_lo
	s_or_b32 s72, s72, s73
	s_mov_b32 s74, -1
	s_or_b32 s62, s62, exec_lo
	s_and_saveexec_b32 s73, s72
	s_cbranch_execz .LBB4_249
.LBB4_253:                              ;   in Loop: Header=BB4_250 Depth=3
	s_sleep 1
	s_trap 2
	ds_read_b64 v[9:10], v0
	s_waitcnt lgkmcnt(0)
	buffer_gl0_inv
	s_andn2_b32 s62, s62, exec_lo
	v_cmp_ge_u64_e32 vcc_lo, v[9:10], v[38:39]
	s_orn2_b32 s74, vcc_lo, exec_lo
	s_branch .LBB4_249
.LBB4_254:                              ;   in Loop: Header=BB4_197 Depth=2
	s_inst_prefetch 0x2
	s_or_b32 exec_lo, exec_lo, s23
	s_and_saveexec_b32 s23, s61
	s_xor_b32 s23, exec_lo, s23
	s_cbranch_execz .LBB4_256
; %bb.255:                              ;   in Loop: Header=BB4_197 Depth=2
	ds_write_b32 v0, v113
	s_trap 2
.LBB4_256:                              ;   in Loop: Header=BB4_197 Depth=2
	s_or_b32 exec_lo, exec_lo, s21
	;;#ASMSTART
	s_wakeup
	;;#ASMEND
.LBB4_257:                              ;   in Loop: Header=BB4_197 Depth=2
	s_or_b32 exec_lo, exec_lo, s20
.LBB4_258:                              ;   in Loop: Header=BB4_197 Depth=2
	s_andn2_saveexec_b32 s19, s19
	s_cbranch_execz .LBB4_260
; %bb.259:                              ;   in Loop: Header=BB4_197 Depth=2
	;;#ASMSTART
	s_waitcnt lgkmcnt(0) vmcnt(0)
	;;#ASMEND
	s_barrier
.LBB4_260:                              ;   in Loop: Header=BB4_197 Depth=2
	s_or_b32 exec_lo, exec_lo, s19
	v_and_b32_e32 v3, 16, v98
.LBB4_261:                              ;   in Loop: Header=BB4_197 Depth=2
	s_or_b32 exec_lo, exec_lo, s16
	s_mov_b32 s16, exec_lo
	v_cmpx_ne_u32_e32 0, v3
	s_cbranch_execz .LBB4_196
; %bb.262:                              ;   in Loop: Header=BB4_197 Depth=2
	s_and_saveexec_b32 s19, s10
	s_cbranch_execz .LBB4_195
; %bb.263:                              ;   in Loop: Header=BB4_197 Depth=2
	s_waitcnt vmcnt(0) lgkmcnt(0)
	s_waitcnt_vscnt null, 0x0
	flat_store_dword v[36:37], v113
	s_branch .LBB4_195
.LBB4_264:                              ;   in Loop: Header=BB4_47 Depth=1
	s_or_b32 exec_lo, exec_lo, s18
.LBB4_265:                              ;   in Loop: Header=BB4_47 Depth=1
	s_or_b32 exec_lo, exec_lo, s17
	s_andn2_b32 vcc_lo, exec_lo, s46
	s_cbranch_vccnz .LBB4_488
; %bb.266:                              ;   in Loop: Header=BB4_47 Depth=1
	s_mov_b32 s23, 2
	s_branch .LBB4_269
.LBB4_267:                              ;   in Loop: Header=BB4_269 Depth=2
	s_or_b32 exec_lo, exec_lo, s18
.LBB4_268:                              ;   in Loop: Header=BB4_269 Depth=2
	s_or_b32 exec_lo, exec_lo, s17
	s_add_i32 s23, s23, 1
	s_cmp_eq_u32 s23, s25
	s_cbranch_scc1 .LBB4_488
.LBB4_269:                              ;   Parent Loop BB4_47 Depth=1
                                        ; =>  This Loop Header: Depth=2
                                        ;       Child Loop BB4_272 Depth 3
                                        ;         Child Loop BB4_280 Depth 4
                                        ;         Child Loop BB4_308 Depth 4
	;; [unrolled: 1-line block ×9, first 2 shown]
                                        ;       Child Loop BB4_416 Depth 3
                                        ;         Child Loop BB4_422 Depth 4
                                        ;         Child Loop BB4_450 Depth 4
	;; [unrolled: 1-line block ×3, first 2 shown]
	s_sub_i32 s16, s42, s23
	v_mov_b32_e32 v60, 0
	s_cmp_ge_i32 s16, s25
	s_mov_b32 s62, 0
	s_cselect_b32 s17, s25, 0
	s_sub_i32 s16, s16, s17
	s_ashr_i32 s17, s16, 31
	v_mul_lo_u32 v3, v55, s16
	v_mad_u64_u32 v[70:71], null, v54, s16, 0
	v_mul_lo_u32 v8, v54, s17
	v_add3_u32 v71, v71, v8, v3
	v_sub_co_u32 v8, vcc_lo, v66, v70
	v_sub_co_ci_u32_e64 v9, null, v67, v71, vcc_lo
	v_cmp_lt_i64_e32 vcc_lo, v[54:55], v[8:9]
	v_cndmask_b32_e32 v8, v8, v54, vcc_lo
	v_max_i32_e32 v59, 0, v8
	v_cmp_lt_i32_e32 vcc_lo, 0, v8
	v_add_nc_u32_e32 v3, 31, v59
	s_and_b32 s16, s57, vcc_lo
	v_lshrrev_b32_e32 v3, 1, v3
	v_and_b32_e32 v9, 0x3ffffff0, v3
	v_mov_b32_e32 v3, 0
	v_max_i32_e32 v68, s45, v9
	s_and_saveexec_b32 s61, s16
	s_cbranch_execz .LBB4_413
; %bb.270:                              ;   in Loop: Header=BB4_269 Depth=2
	v_mov_b32_e32 v60, 0
	s_mov_b32 s72, 1
	s_mov_b32 s63, -1
	s_branch .LBB4_272
.LBB4_271:                              ;   in Loop: Header=BB4_272 Depth=3
	s_or_b32 exec_lo, exec_lo, s16
	v_add_nc_u32_e32 v60, v68, v60
	s_xor_b32 s16, s63, -1
	v_mov_b32_e32 v3, s72
	s_mov_b32 s63, 0
	s_mov_b32 s72, 2
	v_cmp_ge_i32_e32 vcc_lo, v60, v59
	s_or_b32 s16, s16, vcc_lo
	s_and_b32 s16, exec_lo, s16
	s_or_b32 s62, s16, s62
	s_andn2_b32 exec_lo, exec_lo, s62
	s_cbranch_execz .LBB4_412
.LBB4_272:                              ;   Parent Loop BB4_47 Depth=1
                                        ;     Parent Loop BB4_269 Depth=2
                                        ; =>    This Loop Header: Depth=3
                                        ;         Child Loop BB4_280 Depth 4
                                        ;         Child Loop BB4_308 Depth 4
	;; [unrolled: 1-line block ×9, first 2 shown]
	s_and_saveexec_b32 s16, s4
	s_cbranch_execz .LBB4_274
; %bb.273:                              ;   in Loop: Header=BB4_272 Depth=3
	s_trap 2
	ds_read_b64 v[8:9], v0
	s_waitcnt lgkmcnt(0)
	v_add_co_u32 v3, vcc_lo, v8, v57
	v_add_co_ci_u32_e64 v8, null, v9, v58, vcc_lo
	v_ashrrev_i32_e32 v9, 31, v60
	v_add_co_u32 v3, vcc_lo, v3, v70
	v_add_co_ci_u32_e64 v10, null, v8, v71, vcc_lo
	v_add_co_u32 v8, vcc_lo, v3, v60
	v_add_co_ci_u32_e64 v9, null, v10, v9, vcc_lo
	v_mov_b32_e32 v3, v2
	ds_write_b64 v0, v[8:9]
	ds_write_b64 v0, v[2:3]
.LBB4_274:                              ;   in Loop: Header=BB4_272 Depth=3
	s_or_b32 exec_lo, exec_lo, s16
	v_sub_nc_u32_e32 v3, v59, v60
	v_and_b32_e32 v8, 12, v98
	s_mov_b32 s17, exec_lo
	v_min_i32_e32 v68, v68, v3
	v_cmpx_ne_u32_e32 0, v8
	s_cbranch_execz .LBB4_300
; %bb.275:                              ;   in Loop: Header=BB4_272 Depth=3
	v_and_b32_e32 v3, 8, v98
	s_mov_b32 s18, exec_lo
	s_waitcnt vmcnt(0) lgkmcnt(1)
	v_add_co_u32 v10, vcc_lo, v48, v3
	v_add_co_ci_u32_e64 v11, null, 0, v49, vcc_lo
	v_add_co_u32 v8, vcc_lo, v64, 2
	v_add_co_ci_u32_e64 v9, null, 0, v65, vcc_lo
	v_cmpx_lt_u64_e64 v[10:11], v[8:9]
	s_cbranch_execz .LBB4_287
; %bb.276:                              ;   in Loop: Header=BB4_272 Depth=3
	v_and_b32_e32 v10, 64, v98
	s_mov_b32 s19, 0
	s_mov_b32 s74, 0
                                        ; implicit-def: $sgpr20
                                        ; implicit-def: $sgpr21
                                        ; implicit-def: $sgpr73
	v_cmp_eq_u32_e32 vcc_lo, 0, v10
	s_branch .LBB4_280
.LBB4_277:                              ;   in Loop: Header=BB4_280 Depth=4
	s_waitcnt vmcnt(0) lgkmcnt(0)
	v_add_co_u32 v11, s16, v48, v3
	v_add_co_ci_u32_e64 v12, null, 0, v49, s16
	s_or_b32 s77, s77, exec_lo
	v_cmp_ge_u64_e64 s16, v[11:12], v[8:9]
	s_orn2_b32 s76, s16, exec_lo
.LBB4_278:                              ;   in Loop: Header=BB4_280 Depth=4
	s_or_b32 exec_lo, exec_lo, s79
	s_andn2_b32 s16, s73, exec_lo
	s_and_b32 s73, s77, exec_lo
	s_andn2_b32 s21, s21, exec_lo
	s_and_b32 s76, s76, exec_lo
	s_or_b32 s73, s16, s73
	s_or_b32 s21, s21, s76
.LBB4_279:                              ;   in Loop: Header=BB4_280 Depth=4
	s_or_b32 exec_lo, exec_lo, s75
	s_and_b32 s16, exec_lo, s21
	s_or_b32 s19, s16, s19
	s_andn2_b32 s16, s20, exec_lo
	s_and_b32 s20, s73, exec_lo
	s_or_b32 s20, s16, s20
	s_andn2_b32 exec_lo, exec_lo, s19
	s_cbranch_execz .LBB4_284
.LBB4_280:                              ;   Parent Loop BB4_47 Depth=1
                                        ;     Parent Loop BB4_269 Depth=2
                                        ;       Parent Loop BB4_272 Depth=3
                                        ; =>      This Inner Loop Header: Depth=4
	s_sleep 1
	s_waitcnt vmcnt(0) lgkmcnt(0)
	flat_load_dwordx2 v[48:49], v[32:33] glc dlc
	s_or_b32 s73, s73, exec_lo
	s_or_b32 s21, s21, exec_lo
                                        ; implicit-def: $vgpr10
	s_and_saveexec_b32 s75, vcc_lo
	s_cbranch_execz .LBB4_279
; %bb.281:                              ;   in Loop: Header=BB4_280 Depth=4
	s_cmpk_lt_i32 s74, 0x270f
	s_mov_b32 s76, -1
	s_cselect_b32 s78, -1, 0
	s_cmpk_gt_i32 s74, 0x270e
	s_cbranch_scc0 .LBB4_283
; %bb.282:                              ;   in Loop: Header=BB4_280 Depth=4
	s_trap 2
	ds_read_b64 v[10:11], v0
	s_andn2_b32 s74, s78, exec_lo
	s_mov_b32 s77, 0
	s_waitcnt vmcnt(0) lgkmcnt(0)
	s_waitcnt_vscnt null, 0x0
	flat_load_dword v10, v[10:11] glc dlc
	s_waitcnt vmcnt(0) lgkmcnt(0)
	buffer_gl1_inv
	buffer_gl0_inv
	v_cmp_eq_u32_e64 s16, 0, v10
	s_and_b32 s16, s16, exec_lo
	s_or_b32 s78, s74, s16
	s_mov_b32 s74, 0
	s_and_saveexec_b32 s79, s78
	s_cbranch_execz .LBB4_278
	s_branch .LBB4_277
.LBB4_283:                              ;   in Loop: Header=BB4_280 Depth=4
	s_add_i32 s74, s74, 1
	s_mov_b32 s77, -1
                                        ; implicit-def: $vgpr10
	s_and_saveexec_b32 s79, s78
	s_cbranch_execz .LBB4_278
	s_branch .LBB4_277
.LBB4_284:                              ;   in Loop: Header=BB4_272 Depth=3
	s_or_b32 exec_lo, exec_lo, s19
	s_xor_b32 s16, s20, -1
	s_and_saveexec_b32 s19, s16
	s_xor_b32 s16, exec_lo, s19
	s_cbranch_execz .LBB4_286
; %bb.285:                              ;   in Loop: Header=BB4_272 Depth=3
	v_or_b32_e32 v98, 64, v98
	s_waitcnt vmcnt(0) lgkmcnt(0)
	s_waitcnt_vscnt null, 0x0
	ds_write_b32 v0, v10
	s_trap 2
.LBB4_286:                              ;   in Loop: Header=BB4_272 Depth=3
	s_or_b32 exec_lo, exec_lo, s16
.LBB4_287:                              ;   in Loop: Header=BB4_272 Depth=3
	s_or_b32 exec_lo, exec_lo, s18
	v_and_b32_e32 v10, 0x108, v98
	;;#ASMSTART
	s_wakeup
	;;#ASMEND
	v_cmp_ne_u32_e32 vcc_lo, 0x108, v10
                                        ; implicit-def: $vgpr10_vgpr11
	s_and_saveexec_b32 s16, vcc_lo
	s_xor_b32 s16, exec_lo, s16
; %bb.288:                              ;   in Loop: Header=BB4_272 Depth=3
	v_and_b32_e32 v10, 7, v64
	v_mov_b32_e32 v11, v2
                                        ; implicit-def: $vgpr64_vgpr65
; %bb.289:                              ;   in Loop: Header=BB4_272 Depth=3
	s_andn2_saveexec_b32 s16, s16
	s_cbranch_execz .LBB4_291
; %bb.290:                              ;   in Loop: Header=BB4_272 Depth=3
	v_and_b32_e32 v10, 7, v64
	v_ashrrev_i32_e32 v69, 31, v68
	v_mov_b32_e32 v11, v2
	v_mad_u64_u32 v[12:13], null, v10, 24, v[6:7]
	flat_store_dwordx2 v[12:13], v[68:69] offset:8
.LBB4_291:                              ;   in Loop: Header=BB4_272 Depth=3
	s_or_b32 exec_lo, exec_lo, s16
	v_and_b32_e32 v12, 0x100, v98
	s_mov_b32 s16, -1
	v_cmp_ne_u32_e32 vcc_lo, 0, v12
                                        ; implicit-def: $vgpr12_vgpr13
	s_and_saveexec_b32 s18, vcc_lo
	s_cbranch_execz .LBB4_295
; %bb.292:                              ;   in Loop: Header=BB4_272 Depth=3
	v_mad_u64_u32 v[14:15], null, v10, 24, v[6:7]
	v_mov_b32_e32 v12, v15
	v_mad_u64_u32 v[12:13], null, v11, 24, v[12:13]
	v_mov_b32_e32 v15, v12
	flat_load_dword v12, v[14:15]
	s_waitcnt vmcnt(0) lgkmcnt(0)
	v_cmp_eq_u32_e64 s16, 1, v12
	v_cmp_ne_u32_e32 vcc_lo, 1, v12
                                        ; implicit-def: $vgpr12_vgpr13
	s_and_saveexec_b32 s19, s16
	s_cbranch_execz .LBB4_294
; %bb.293:                              ;   in Loop: Header=BB4_272 Depth=3
	flat_load_dword v12, v[14:15] offset:4 glc dlc
	s_waitcnt vmcnt(0) lgkmcnt(0)
	v_ashrrev_i32_e32 v13, 31, v12
.LBB4_294:                              ;   in Loop: Header=BB4_272 Depth=3
	s_or_b32 exec_lo, exec_lo, s19
	s_orn2_b32 s16, vcc_lo, exec_lo
.LBB4_295:                              ;   in Loop: Header=BB4_272 Depth=3
	s_or_b32 exec_lo, exec_lo, s18
	s_and_saveexec_b32 s18, s16
; %bb.296:                              ;   in Loop: Header=BB4_272 Depth=3
	v_mul_lo_u32 v11, v11, v99
	v_mul_lo_u32 v14, v10, v100
	v_mad_u64_u32 v[12:13], null, v10, v99, 0
	v_add3_u32 v13, v13, v14, v11
; %bb.297:                              ;   in Loop: Header=BB4_272 Depth=3
	s_or_b32 exec_lo, exec_lo, s18
	v_cmp_eq_u32_e32 vcc_lo, 0, v3
	v_and_b32_e32 v14, 0x2000, v98
	s_mov_b32 s16, exec_lo
	v_cndmask_b32_e32 v3, 0xc8, v114, vcc_lo
	v_add_co_u32 v10, vcc_lo, v34, v12
	v_add_co_ci_u32_e64 v11, null, v35, v13, vcc_lo
	v_add_nc_u32_e32 v3, v0, v3
	ds_write_b64 v3, v[10:11] offset:584
	v_cmpx_ne_u32_e32 0, v14
	s_cbranch_execz .LBB4_299
; %bb.298:                              ;   in Loop: Header=BB4_272 Depth=3
	ds_read_b64 v[10:11], v0 offset:872
	s_waitcnt lgkmcnt(0)
	v_add_co_u32 v10, vcc_lo, v10, 1
	v_add_co_ci_u32_e64 v11, null, 0, v11, vcc_lo
	ds_write_b64 v0, v[10:11] offset:872
.LBB4_299:                              ;   in Loop: Header=BB4_272 Depth=3
	s_or_b32 exec_lo, exec_lo, s16
	v_mov_b32_e32 v65, v9
	v_mov_b32_e32 v64, v8
.LBB4_300:                              ;   in Loop: Header=BB4_272 Depth=3
	s_or_b32 exec_lo, exec_lo, s17
	s_and_saveexec_b32 s16, s6
	s_cbranch_execz .LBB4_319
; %bb.301:                              ;   in Loop: Header=BB4_272 Depth=3
	s_and_saveexec_b32 s17, s29
	s_xor_b32 s17, exec_lo, s17
	s_cbranch_execz .LBB4_316
; %bb.302:                              ;   in Loop: Header=BB4_272 Depth=3
	s_and_saveexec_b32 s18, s11
	s_cbranch_execz .LBB4_315
; %bb.303:                              ;   in Loop: Header=BB4_272 Depth=3
	s_mov_b32 s20, exec_lo
	s_mov_b32 s19, exec_lo
	v_mbcnt_lo_u32_b32 v3, s20, 0
	s_waitcnt vmcnt(0) lgkmcnt(0)
	s_waitcnt_vscnt null, 0x0
	buffer_gl1_inv
	buffer_gl0_inv
	v_cmpx_eq_u32_e32 0, v3
	s_cbranch_execz .LBB4_305
; %bb.304:                              ;   in Loop: Header=BB4_272 Depth=3
	s_bcnt1_i32_b32 s20, s20
	v_mov_b32_e32 v9, v2
	v_mov_b32_e32 v8, s20
	ds_add_u64 v0, v[8:9]
	s_trap 2
.LBB4_305:                              ;   in Loop: Header=BB4_272 Depth=3
	s_or_b32 exec_lo, exec_lo, s19
	s_trap 2
	ds_read_b64 v[8:9], v0
	s_waitcnt lgkmcnt(0)
	buffer_gl0_inv
	v_add_co_u32 v38, vcc_lo, v38, v101
	v_add_co_ci_u32_e64 v39, null, 0, v39, vcc_lo
	s_mov_b32 s19, exec_lo
	v_cmpx_lt_u64_e64 v[8:9], v[38:39]
	s_cbranch_execz .LBB4_314
; %bb.306:                              ;   in Loop: Header=BB4_272 Depth=3
	s_mov_b32 s20, 0
	s_mov_b32 s74, 0
                                        ; implicit-def: $sgpr21
                                        ; implicit-def: $sgpr73
	s_inst_prefetch 0x1
	s_branch .LBB4_308
	.p2align	6
.LBB4_307:                              ;   in Loop: Header=BB4_308 Depth=4
	s_or_b32 exec_lo, exec_lo, s76
	s_and_b32 s75, exec_lo, s77
	s_or_b32 s20, s75, s20
	s_andn2_b32 s21, s21, exec_lo
	s_and_b32 s75, s73, exec_lo
	s_or_b32 s21, s21, s75
	s_andn2_b32 exec_lo, exec_lo, s20
	s_cbranch_execz .LBB4_312
.LBB4_308:                              ;   Parent Loop BB4_47 Depth=1
                                        ;     Parent Loop BB4_269 Depth=2
                                        ;       Parent Loop BB4_272 Depth=3
                                        ; =>      This Inner Loop Header: Depth=4
	s_add_i32 s74, s74, 1
	s_cmpk_lg_i32 s74, 0x2710
	s_cselect_b32 s75, -1, 0
	s_and_b32 vcc_lo, exec_lo, s75
	s_cbranch_vccz .LBB4_310
; %bb.309:                              ;   in Loop: Header=BB4_308 Depth=4
	s_mov_b32 s77, -1
	s_or_b32 s73, s73, exec_lo
	s_and_saveexec_b32 s76, s75
	s_cbranch_execz .LBB4_307
	s_branch .LBB4_311
	.p2align	6
.LBB4_310:                              ;   in Loop: Header=BB4_308 Depth=4
	s_trap 2
	ds_read_b64 v[8:9], v0
	s_andn2_b32 s75, s75, exec_lo
	s_mov_b32 s74, 0
	s_waitcnt lgkmcnt(0)
	flat_load_dword v3, v[8:9] glc dlc
	s_waitcnt vmcnt(0) lgkmcnt(0)
	buffer_gl1_inv
	buffer_gl0_inv
	v_cmp_eq_u32_e32 vcc_lo, 0, v3
	s_and_b32 s76, vcc_lo, exec_lo
	s_or_b32 s75, s75, s76
	s_mov_b32 s77, -1
	s_or_b32 s73, s73, exec_lo
	s_and_saveexec_b32 s76, s75
	s_cbranch_execz .LBB4_307
.LBB4_311:                              ;   in Loop: Header=BB4_308 Depth=4
	s_sleep 1
	s_trap 2
	ds_read_b64 v[8:9], v0
	s_waitcnt lgkmcnt(0)
	buffer_gl0_inv
	s_andn2_b32 s73, s73, exec_lo
	v_cmp_ge_u64_e32 vcc_lo, v[8:9], v[38:39]
	s_orn2_b32 s77, vcc_lo, exec_lo
	s_branch .LBB4_307
.LBB4_312:                              ;   in Loop: Header=BB4_272 Depth=3
	s_inst_prefetch 0x2
	s_or_b32 exec_lo, exec_lo, s20
	s_and_saveexec_b32 s20, s21
	s_xor_b32 s20, exec_lo, s20
	s_cbranch_execz .LBB4_314
; %bb.313:                              ;   in Loop: Header=BB4_272 Depth=3
	ds_write_b32 v0, v113
	s_trap 2
.LBB4_314:                              ;   in Loop: Header=BB4_272 Depth=3
	s_or_b32 exec_lo, exec_lo, s19
	;;#ASMSTART
	s_wakeup
	;;#ASMEND
.LBB4_315:                              ;   in Loop: Header=BB4_272 Depth=3
	s_or_b32 exec_lo, exec_lo, s18
.LBB4_316:                              ;   in Loop: Header=BB4_272 Depth=3
	s_andn2_saveexec_b32 s17, s17
	s_cbranch_execz .LBB4_318
; %bb.317:                              ;   in Loop: Header=BB4_272 Depth=3
	s_waitcnt vmcnt(0) lgkmcnt(0)
	s_waitcnt_vscnt null, 0x0
	buffer_gl1_inv
	buffer_gl0_inv
	s_barrier
.LBB4_318:                              ;   in Loop: Header=BB4_272 Depth=3
	s_or_b32 exec_lo, exec_lo, s17
.LBB4_319:                              ;   in Loop: Header=BB4_272 Depth=3
	s_or_b32 exec_lo, exec_lo, s16
	s_trap 2
	ds_read_b32 v3, v0
	v_and_b32_e32 v8, 0x4000, v98
	s_xor_b32 s16, s5, -1
	v_cmp_ne_u32_e32 vcc_lo, 0, v8
	s_and_b32 s17, s16, vcc_lo
	s_and_saveexec_b32 s16, s17
	s_cbranch_execz .LBB4_338
; %bb.320:                              ;   in Loop: Header=BB4_272 Depth=3
	s_and_saveexec_b32 s17, s29
	s_xor_b32 s17, exec_lo, s17
	s_cbranch_execz .LBB4_335
; %bb.321:                              ;   in Loop: Header=BB4_272 Depth=3
	s_and_saveexec_b32 s18, s11
	s_cbranch_execz .LBB4_334
; %bb.322:                              ;   in Loop: Header=BB4_272 Depth=3
	s_mov_b32 s20, exec_lo
	s_mov_b32 s19, exec_lo
	v_mbcnt_lo_u32_b32 v8, s20, 0
	s_waitcnt vmcnt(0) lgkmcnt(0)
	s_waitcnt_vscnt null, 0x0
	buffer_gl1_inv
	buffer_gl0_inv
	v_cmpx_eq_u32_e32 0, v8
	s_cbranch_execz .LBB4_324
; %bb.323:                              ;   in Loop: Header=BB4_272 Depth=3
	s_bcnt1_i32_b32 s20, s20
	v_mov_b32_e32 v9, v2
	v_mov_b32_e32 v8, s20
	ds_add_u64 v0, v[8:9]
	s_trap 2
.LBB4_324:                              ;   in Loop: Header=BB4_272 Depth=3
	s_or_b32 exec_lo, exec_lo, s19
	s_trap 2
	ds_read_b64 v[8:9], v0
	s_waitcnt lgkmcnt(0)
	buffer_gl0_inv
	v_add_co_u32 v38, vcc_lo, v38, v101
	v_add_co_ci_u32_e64 v39, null, 0, v39, vcc_lo
	s_mov_b32 s19, exec_lo
	v_cmpx_lt_u64_e64 v[8:9], v[38:39]
	s_cbranch_execz .LBB4_333
; %bb.325:                              ;   in Loop: Header=BB4_272 Depth=3
	s_mov_b32 s20, 0
	s_mov_b32 s74, 0
                                        ; implicit-def: $sgpr21
                                        ; implicit-def: $sgpr73
	s_inst_prefetch 0x1
	s_branch .LBB4_327
	.p2align	6
.LBB4_326:                              ;   in Loop: Header=BB4_327 Depth=4
	s_or_b32 exec_lo, exec_lo, s76
	s_and_b32 s75, exec_lo, s77
	s_or_b32 s20, s75, s20
	s_andn2_b32 s21, s21, exec_lo
	s_and_b32 s75, s73, exec_lo
	s_or_b32 s21, s21, s75
	s_andn2_b32 exec_lo, exec_lo, s20
	s_cbranch_execz .LBB4_331
.LBB4_327:                              ;   Parent Loop BB4_47 Depth=1
                                        ;     Parent Loop BB4_269 Depth=2
                                        ;       Parent Loop BB4_272 Depth=3
                                        ; =>      This Inner Loop Header: Depth=4
	s_add_i32 s74, s74, 1
	s_cmpk_lg_i32 s74, 0x2710
	s_cselect_b32 s75, -1, 0
	s_and_b32 vcc_lo, exec_lo, s75
	s_cbranch_vccz .LBB4_329
; %bb.328:                              ;   in Loop: Header=BB4_327 Depth=4
	s_mov_b32 s77, -1
	s_or_b32 s73, s73, exec_lo
	s_and_saveexec_b32 s76, s75
	s_cbranch_execz .LBB4_326
	s_branch .LBB4_330
	.p2align	6
.LBB4_329:                              ;   in Loop: Header=BB4_327 Depth=4
	s_trap 2
	ds_read_b64 v[8:9], v0
	s_andn2_b32 s75, s75, exec_lo
	s_mov_b32 s74, 0
	s_waitcnt lgkmcnt(0)
	flat_load_dword v8, v[8:9] glc dlc
	s_waitcnt vmcnt(0) lgkmcnt(0)
	buffer_gl1_inv
	buffer_gl0_inv
	v_cmp_eq_u32_e32 vcc_lo, 0, v8
	s_and_b32 s76, vcc_lo, exec_lo
	s_or_b32 s75, s75, s76
	s_mov_b32 s77, -1
	s_or_b32 s73, s73, exec_lo
	s_and_saveexec_b32 s76, s75
	s_cbranch_execz .LBB4_326
.LBB4_330:                              ;   in Loop: Header=BB4_327 Depth=4
	s_sleep 1
	s_trap 2
	ds_read_b64 v[8:9], v0
	s_waitcnt lgkmcnt(0)
	buffer_gl0_inv
	s_andn2_b32 s73, s73, exec_lo
	v_cmp_ge_u64_e32 vcc_lo, v[8:9], v[38:39]
	s_orn2_b32 s77, vcc_lo, exec_lo
	s_branch .LBB4_326
.LBB4_331:                              ;   in Loop: Header=BB4_272 Depth=3
	s_inst_prefetch 0x2
	s_or_b32 exec_lo, exec_lo, s20
	s_and_saveexec_b32 s20, s21
	s_xor_b32 s20, exec_lo, s20
	s_cbranch_execz .LBB4_333
; %bb.332:                              ;   in Loop: Header=BB4_272 Depth=3
	ds_write_b32 v0, v113
	s_trap 2
.LBB4_333:                              ;   in Loop: Header=BB4_272 Depth=3
	s_or_b32 exec_lo, exec_lo, s19
	;;#ASMSTART
	s_wakeup
	;;#ASMEND
.LBB4_334:                              ;   in Loop: Header=BB4_272 Depth=3
	s_or_b32 exec_lo, exec_lo, s18
.LBB4_335:                              ;   in Loop: Header=BB4_272 Depth=3
	s_andn2_saveexec_b32 s17, s17
	s_cbranch_execz .LBB4_337
; %bb.336:                              ;   in Loop: Header=BB4_272 Depth=3
	s_waitcnt vmcnt(0) lgkmcnt(0)
	s_waitcnt_vscnt null, 0x0
	buffer_gl1_inv
	buffer_gl0_inv
	s_barrier
.LBB4_337:                              ;   in Loop: Header=BB4_272 Depth=3
	s_or_b32 exec_lo, exec_lo, s17
.LBB4_338:                              ;   in Loop: Header=BB4_272 Depth=3
	s_or_b32 exec_lo, exec_lo, s16
	s_trap 2
	ds_read_b64 v[80:81], v0
	s_waitcnt lgkmcnt(0)
	v_cmp_eq_u64_e32 vcc_lo, 0, v[80:81]
	s_cbranch_vccnz .LBB4_346
; %bb.339:                              ;   in Loop: Header=BB4_272 Depth=3
	s_trap 2
	ds_read_b64 v[82:83], v0
	s_waitcnt lgkmcnt(0)
	v_cmp_eq_u64_e32 vcc_lo, 0, v[82:83]
	s_cbranch_vccnz .LBB4_346
; %bb.340:                              ;   in Loop: Header=BB4_272 Depth=3
	s_trap 2
	ds_read_b64 v[8:9], v0
	s_mov_b32 s16, -1
	s_waitcnt lgkmcnt(0)
	v_readfirstlane_b32 s73, v8
	s_and_saveexec_b32 s17, s14
	s_cbranch_execz .LBB4_342
; %bb.341:                              ;   in Loop: Header=BB4_272 Depth=3
	ds_read_b32 v8, v0 offset:720
	s_waitcnt lgkmcnt(0)
	v_and_b32_e32 v8, 15, v8
	v_cmp_eq_u32_e32 vcc_lo, 0, v8
	s_orn2_b32 s16, vcc_lo, exec_lo
.LBB4_342:                              ;   in Loop: Header=BB4_272 Depth=3
	s_or_b32 exec_lo, exec_lo, s17
	s_and_saveexec_b32 s17, s13
	s_cbranch_execz .LBB4_344
; %bb.343:                              ;   in Loop: Header=BB4_272 Depth=3
	ds_read_b32 v8, v0 offset:784
	s_waitcnt lgkmcnt(0)
	v_and_b32_e32 v8, 15, v8
	v_cmp_eq_u32_e32 vcc_lo, 0, v8
	s_and_b32 s18, s16, vcc_lo
	s_andn2_b32 s16, s16, exec_lo
	s_and_b32 s18, s18, exec_lo
	s_or_b32 s16, s16, s18
.LBB4_344:                              ;   in Loop: Header=BB4_272 Depth=3
	s_or_b32 exec_lo, exec_lo, s17
	v_cmp_eq_u32_e32 vcc_lo, 0, v3
	s_xor_b32 s16, s16, -1
	v_mov_b32_e32 v14, 0
	v_cndmask_b32_e64 v8, 0, 1, s16
	v_mov_b32_e32 v16, v0
	v_cndmask_b32_e32 v3, 0, v68, vcc_lo
	s_mov_b32 s16, -1
	v_cmp_ne_u32_e32 vcc_lo, 0, v8
	v_mov_b32_e32 v15, v3
	s_cbranch_vccz .LBB4_351
; %bb.345:                              ;   in Loop: Header=BB4_272 Depth=3
	s_and_saveexec_b32 s74, s16
	s_cbranch_execnz .LBB4_362
	s_branch .LBB4_370
.LBB4_346:                              ;   in Loop: Header=BB4_272 Depth=3
	s_mov_b32 s16, 0
	s_and_saveexec_b32 s17, s6
	s_cbranch_execnz .LBB4_371
.LBB4_347:                              ;   in Loop: Header=BB4_272 Depth=3
	s_or_b32 exec_lo, exec_lo, s17
                                        ; implicit-def: $vgpr3
	s_and_saveexec_b32 s17, s15
	s_xor_b32 s17, exec_lo, s17
	s_cbranch_execz .LBB4_389
.LBB4_348:                              ;   in Loop: Header=BB4_272 Depth=3
	v_and_b32_e32 v3, 16, v98
	v_cmp_ne_u32_e32 vcc_lo, 0, v3
	v_and_b32_e32 v3, 16, v98
	s_and_b32 s18, vcc_lo, s16
	s_and_saveexec_b32 s16, s18
	s_cbranch_execz .LBB4_350
; %bb.349:                              ;   in Loop: Header=BB4_272 Depth=3
	v_mov_b32_e32 v3, 1
	s_waitcnt vmcnt(0) lgkmcnt(0)
	s_waitcnt_vscnt null, 0x0
	buffer_gl1_inv
	buffer_gl0_inv
.LBB4_350:                              ;   in Loop: Header=BB4_272 Depth=3
	s_or_b32 exec_lo, exec_lo, s16
	s_andn2_saveexec_b32 s16, s17
	s_cbranch_execz .LBB4_408
	s_branch .LBB4_390
.LBB4_351:                              ;   in Loop: Header=BB4_272 Depth=3
	v_ashrrev_i32_e32 v8, 31, v3
	s_mov_b32 s17, exec_lo
	v_lshrrev_b32_e32 v8, 22, v8
	v_add_nc_u32_e32 v8, v3, v8
	v_ashrrev_i32_e32 v61, 10, v8
	v_sub_nc_u32_e32 v69, v61, v103
	v_cmpx_lt_i32_e32 0, v69
	s_cbranch_execz .LBB4_355
; %bb.352:                              ;   in Loop: Header=BB4_272 Depth=3
	s_trap 2
	ds_read_b64 v[8:9], v0
	v_add_co_u32 v84, vcc_lo, v80, v40
	v_add_co_ci_u32_e64 v85, null, 0, v81, vcc_lo
	v_add_co_u32 v86, vcc_lo, v82, v40
	v_add_co_ci_u32_e64 v87, null, 0, v83, vcc_lo
	s_and_b32 s19, s73, 0xff
	s_mov_b32 s18, 0
	s_mul_i32 s19, s19, 0x1010101
	s_waitcnt lgkmcnt(0)
	v_add_co_u32 v96, vcc_lo, v8, v40
	v_add_co_ci_u32_e64 v97, null, 0, v9, vcc_lo
.LBB4_353:                              ;   Parent Loop BB4_47 Depth=1
                                        ;     Parent Loop BB4_269 Depth=2
                                        ;       Parent Loop BB4_272 Depth=3
                                        ; =>      This Inner Loop Header: Depth=4
	global_load_dwordx4 v[8:11], v[84:85], off slc
	global_load_dwordx4 v[20:23], v[96:97], off slc
	global_load_dwordx4 v[12:15], v[84:85], off offset:512 slc
	global_load_dwordx4 v[16:19], v[96:97], off offset:512 slc
	v_sub_nc_u32_e32 v69, v69, v101
	v_add_co_u32 v84, vcc_lo, v84, v118
	v_add_co_ci_u32_e64 v85, null, 0, v85, vcc_lo
	v_add_co_u32 v96, vcc_lo, v96, v118
	v_add_co_ci_u32_e64 v97, null, 0, v97, vcc_lo
	v_cmp_gt_i32_e32 vcc_lo, 1, v69
	s_or_b32 s18, vcc_lo, s18
	s_waitcnt vmcnt(3)
	v_xor_b32_e32 v62, s19, v8
	s_waitcnt vmcnt(2)
	v_xor3_b32 v63, s19, -1, v20
	v_xor_b32_e32 v72, s19, v9
	v_xnor_b32_e32 v73, s19, v21
	v_xor_b32_e32 v74, s19, v10
	v_xnor_b32_e32 v75, s19, v22
	;; [unrolled: 2-line block ×3, first 2 shown]
	s_waitcnt vmcnt(1)
	v_xor_b32_e32 v78, s19, v12
	s_waitcnt vmcnt(0)
	v_xnor_b32_e32 v79, s19, v16
	v_xor_b32_e32 v88, s19, v13
	v_xnor_b32_e32 v89, s19, v17
	v_xor_b32_e32 v90, s19, v14
	;; [unrolled: 2-line block ×3, first 2 shown]
	v_xnor_b32_e32 v93, s19, v19
	v_and_b32_e32 v94, 0xff00ff, v62
	v_and_b32_e32 v95, 0xff00ff, v63
	v_lshrrev_b32_e32 v62, 8, v62
	v_lshrrev_b32_e32 v63, 8, v63
	v_and_b32_e32 v104, 0xff00ff, v72
	v_and_b32_e32 v105, 0xff00ff, v73
	v_lshrrev_b32_e32 v72, 8, v72
	v_lshrrev_b32_e32 v73, 8, v73
	;; [unrolled: 4-line block ×8, first 2 shown]
	v_add3_u32 v94, v94, v95, 0x1010101
	v_and_b32_e32 v62, 0xff00ff, v62
	v_and_b32_e32 v63, 0xff00ff, v63
	v_add3_u32 v95, v104, v105, 0x1010101
	v_and_b32_e32 v72, 0xff00ff, v72
	v_and_b32_e32 v73, 0xff00ff, v73
	;; [unrolled: 3-line block ×8, first 2 shown]
	v_add3_u32 v62, v62, v63, 0x1010101
	v_lshrrev_b32_e32 v63, 8, v94
	v_add3_u32 v72, v72, v73, 0x1010101
	v_lshrrev_b32_e32 v73, 8, v95
	;; [unrolled: 2-line block ×8, first 2 shown]
	v_and_b32_e32 v63, 0x10001, v63
	v_and_b32_e32 v73, 0x10001, v73
	;; [unrolled: 1-line block ×8, first 2 shown]
	v_and_or_b32 v62, 0x1000100, v62, v63
	v_and_or_b32 v63, 0x1000100, v72, v73
	;; [unrolled: 1-line block ×8, first 2 shown]
	v_mul_lo_u32 v62, 0xff, v62
	v_mul_lo_u32 v63, 0xff, v63
	;; [unrolled: 1-line block ×8, first 2 shown]
	v_bfi_b32 v8, v62, v8, v20
	v_bfi_b32 v9, v63, v9, v21
	;; [unrolled: 1-line block ×8, first 2 shown]
	global_store_dwordx4 v[86:87], v[8:11], off glc slc
	global_store_dwordx4 v[86:87], v[12:15], off offset:512 glc slc
	v_add_co_u32 v86, s16, v86, v118
	v_add_co_ci_u32_e64 v87, null, 0, v87, s16
	s_andn2_b32 exec_lo, exec_lo, s18
	s_cbranch_execnz .LBB4_353
; %bb.354:                              ;   in Loop: Header=BB4_272 Depth=3
	s_or_b32 exec_lo, exec_lo, s18
.LBB4_355:                              ;   in Loop: Header=BB4_272 Depth=3
	s_or_b32 exec_lo, exec_lo, s17
	v_lshlrev_b32_e32 v17, 10, v61
	v_mov_b32_e32 v14, 0
	s_mov_b32 s16, 0
	s_mov_b32 s18, exec_lo
                                        ; implicit-def: $vgpr15
                                        ; implicit-def: $vgpr16
	v_cmpx_ne_u32_e64 v3, v17
	s_cbranch_execz .LBB4_361
; %bb.356:                              ;   in Loop: Header=BB4_272 Depth=3
	v_lshlrev_b32_e32 v8, 5, v69
	v_sub_nc_u32_e32 v10, v3, v17
	s_mov_b32 s19, exec_lo
	v_sub_nc_u32_e32 v8, v102, v8
	v_ashrrev_i32_e32 v11, 31, v10
	v_ashrrev_i32_e32 v9, 31, v8
	v_lshrrev_b32_e32 v11, 23, v11
	v_lshrrev_b32_e32 v9, 27, v9
	v_add_nc_u32_e32 v11, v10, v11
	v_add_nc_u32_e32 v9, v8, v9
	v_and_b32_e32 v14, 0xfffffe00, v11
	v_ashrrev_i32_e32 v11, 9, v11
	v_and_b32_e32 v12, 0xffffffe0, v9
	v_sub_nc_u32_e32 v15, v10, v14
	v_ashrrev_i32_e32 v9, 5, v9
	v_sub_nc_u32_e32 v16, v8, v12
	v_cmp_lt_i32_e32 vcc_lo, 15, v15
	v_lshlrev_b32_e32 v8, 4, v16
	v_add_co_ci_u32_e64 v11, null, 0, v11, vcc_lo
	v_lshl_add_u32 v8, v9, 9, v8
	v_sub_nc_u32_e32 v18, v11, v9
	v_sub_nc_u32_e32 v19, v10, v8
	v_cmpx_lt_i32_e32 15, v19
	s_cbranch_execz .LBB4_360
; %bb.357:                              ;   in Loop: Header=BB4_272 Depth=3
	s_trap 2
	ds_read_b64 v[12:13], v0
	v_add_nc_u32_e32 v20, v8, v17
	s_and_b32 s21, s73, 0xff
	s_mov_b32 s20, 0
	s_mul_i32 s21, s21, 0x1010101
	v_ashrrev_i32_e32 v21, 31, v20
	v_add_co_u32 v8, s16, v20, v80
	v_add_co_ci_u32_e64 v9, null, v21, v81, s16
	v_add_co_u32 v10, s16, v20, v82
	v_add_co_ci_u32_e64 v11, null, v21, v83, s16
	s_waitcnt lgkmcnt(0)
	v_add_co_u32 v12, s16, v12, v20
	v_add_co_ci_u32_e64 v13, null, v13, v21, s16
.LBB4_358:                              ;   Parent Loop BB4_47 Depth=1
                                        ;     Parent Loop BB4_269 Depth=2
                                        ;       Parent Loop BB4_272 Depth=3
                                        ; =>      This Inner Loop Header: Depth=4
	global_load_dwordx4 v[20:23], v[12:13], off slc
	global_load_dwordx4 v[84:87], v[8:9], off slc
	v_sub_nc_u32_e32 v19, v19, v117
	v_add_co_u32 v8, s16, v8, v117
	v_add_co_ci_u32_e64 v9, null, 0, v9, s16
	v_add_co_u32 v12, s16, v12, v117
	v_add_co_ci_u32_e64 v13, null, 0, v13, s16
	v_cmp_gt_i32_e64 s16, 16, v19
	v_sub_nc_u32_e32 v18, v18, v101
	s_or_b32 s20, s16, s20
	s_waitcnt vmcnt(1)
	v_xor3_b32 v69, s21, -1, v20
	v_xnor_b32_e32 v96, s21, v21
	v_xnor_b32_e32 v97, s21, v22
	;; [unrolled: 1-line block ×3, first 2 shown]
	s_waitcnt vmcnt(0)
	v_xor_b32_e32 v62, s21, v84
	v_xor_b32_e32 v63, s21, v85
	;; [unrolled: 1-line block ×4, first 2 shown]
	v_and_b32_e32 v74, 0xff00ff, v69
	v_lshrrev_b32_e32 v69, 8, v69
	v_and_b32_e32 v75, 0xff00ff, v96
	v_lshrrev_b32_e32 v96, 8, v96
	;; [unrolled: 2-line block ×3, first 2 shown]
	v_and_b32_e32 v77, 0xff00ff, v61
	v_and_b32_e32 v78, 0xff00ff, v62
	v_lshrrev_b32_e32 v62, 8, v62
	v_and_b32_e32 v79, 0xff00ff, v63
	v_lshrrev_b32_e32 v63, 8, v63
	;; [unrolled: 2-line block ×4, first 2 shown]
	v_lshrrev_b32_e32 v73, 8, v73
	v_and_b32_e32 v69, 0xff00ff, v69
	v_and_b32_e32 v96, 0xff00ff, v96
	;; [unrolled: 1-line block ×3, first 2 shown]
	v_add3_u32 v74, v78, v74, 0x1010101
	v_and_b32_e32 v62, 0xff00ff, v62
	v_add3_u32 v75, v79, v75, 0x1010101
	v_and_b32_e32 v63, 0xff00ff, v63
	;; [unrolled: 2-line block ×4, first 2 shown]
	v_and_b32_e32 v73, 0xff00ff, v73
	v_add3_u32 v69, v62, v69, 0x1010101
	v_lshrrev_b32_e32 v62, 8, v74
	v_add3_u32 v96, v63, v96, 0x1010101
	v_lshrrev_b32_e32 v63, 8, v75
	;; [unrolled: 2-line block ×3, first 2 shown]
	v_lshrrev_b32_e32 v74, 8, v77
	v_add3_u32 v61, v73, v61, 0x1010101
	v_and_b32_e32 v62, 0x10001, v62
	v_and_b32_e32 v63, 0x10001, v63
	;; [unrolled: 1-line block ×4, first 2 shown]
	v_and_or_b32 v69, 0x1000100, v69, v62
	v_and_or_b32 v96, 0x1000100, v96, v63
	;; [unrolled: 1-line block ×4, first 2 shown]
	v_mul_lo_u32 v69, 0xff, v69
	v_mul_lo_u32 v96, 0xff, v96
	;; [unrolled: 1-line block ×4, first 2 shown]
	v_bfi_b32 v20, v69, v84, v20
	v_bfi_b32 v21, v96, v85, v21
	;; [unrolled: 1-line block ×4, first 2 shown]
	global_store_dwordx4 v[10:11], v[20:23], off glc slc
	v_add_co_u32 v10, s17, v10, v117
	v_add_co_ci_u32_e64 v11, null, 0, v11, s17
	s_andn2_b32 exec_lo, exec_lo, s20
	s_cbranch_execnz .LBB4_358
; %bb.359:                              ;   in Loop: Header=BB4_272 Depth=3
	s_or_b32 exec_lo, exec_lo, s20
.LBB4_360:                              ;   in Loop: Header=BB4_272 Depth=3
	s_or_b32 exec_lo, exec_lo, s19
	v_and_b32_e32 v8, 15, v3
	v_cmp_lt_i32_e64 s16, 0, v18
	v_sub_nc_u32_e32 v9, v15, v8
	v_cndmask_b32_e64 v10, 0, v101, s16
	v_cndmask_b32_e32 v15, v15, v8, vcc_lo
	v_cndmask_b32_e32 v8, 0, v9, vcc_lo
	v_sub_nc_u32_e32 v9, v10, v18
	v_cmp_ne_u32_e32 vcc_lo, 0, v15
	v_add3_u32 v14, v14, v17, v8
	v_lshl_add_u32 v16, v9, 5, v16
	s_and_b32 s16, vcc_lo, exec_lo
.LBB4_361:                              ;   in Loop: Header=BB4_272 Depth=3
	s_or_b32 exec_lo, exec_lo, s18
	s_and_saveexec_b32 s74, s16
	s_cbranch_execz .LBB4_370
.LBB4_362:                              ;   in Loop: Header=BB4_272 Depth=3
	v_ashrrev_i32_e32 v8, 31, v16
	v_ashrrev_i32_e32 v9, 31, v15
	s_mov_b32 s75, exec_lo
	v_lshrrev_b32_e32 v8, 27, v8
	v_lshrrev_b32_e32 v9, 23, v9
	v_add_nc_u32_e32 v8, v16, v8
	v_add_nc_u32_e32 v9, v15, v9
	v_ashrrev_i32_e32 v17, 5, v8
	v_ashrrev_i32_e32 v19, 9, v9
	v_sub_nc_u32_e32 v18, v19, v17
	v_cmpx_lt_i32_e32 0, v18
	s_cbranch_execz .LBB4_366
; %bb.363:                              ;   in Loop: Header=BB4_272 Depth=3
	v_and_b32_e32 v8, 0xffffffe0, v8
	s_trap 2
	ds_read_b64 v[10:11], v0
	v_lshlrev_b32_e32 v9, 9, v17
	v_add_co_u32 v20, vcc_lo, 0x1e0, v82
	v_sub_nc_u32_e32 v8, v16, v8
	v_add_co_ci_u32_e64 v21, null, 0, v83, vcc_lo
	s_and_b32 s76, s73, 0xff
	s_mov_b32 s77, 0
	v_add3_u32 v12, v14, v8, v9
	v_ashrrev_i32_e32 v13, 31, v12
	v_add_co_u32 v8, vcc_lo, v12, v80
	v_add_co_ci_u32_e64 v9, null, v13, v81, vcc_lo
	s_waitcnt lgkmcnt(0)
	v_add_co_u32 v10, vcc_lo, v10, v12
	v_add_co_ci_u32_e64 v11, null, v11, v13, vcc_lo
	v_add_co_u32 v12, vcc_lo, v20, v12
	v_add_co_ci_u32_e64 v13, null, v21, v13, vcc_lo
.LBB4_364:                              ;   Parent Loop BB4_47 Depth=1
                                        ;     Parent Loop BB4_269 Depth=2
                                        ;       Parent Loop BB4_272 Depth=3
                                        ; =>      This Inner Loop Header: Depth=4
	flat_load_ubyte v20, v[8:9] slc
	flat_load_ubyte v21, v[10:11] slc
	flat_load_ubyte v22, v[8:9] offset:32 slc
	flat_load_ubyte v23, v[10:11] offset:32 slc
	;; [unrolled: 1-line block ×8, first 2 shown]
	v_sub_nc_u32_e32 v18, v18, v101
	s_waitcnt vmcnt(9) lgkmcnt(9)
	v_xor_b32_e32 v85, s76, v20
	s_waitcnt vmcnt(8) lgkmcnt(8)
	v_xor_b32_e32 v86, s76, v21
	v_cmp_lt_u16_e32 vcc_lo, v85, v86
	flat_load_ubyte v85, v[8:9] offset:160 slc
	flat_load_ubyte v87, v[10:11] offset:160 slc
	;; [unrolled: 1-line block ×22, first 2 shown]
	v_add_co_u32 v10, s21, v10, v117
	v_cndmask_b32_e32 v86, v21, v20, vcc_lo
	v_add_co_u32 v20, vcc_lo, 0xfffffe20, v12
	v_add_co_ci_u32_e64 v21, null, -1, v13, vcc_lo
	v_add_co_ci_u32_e64 v11, null, 0, v11, s21
	flat_store_byte v[20:21], v86 glc slc
	s_waitcnt vmcnt(29) lgkmcnt(30)
	v_xor_b32_e32 v20, s76, v22
	s_waitcnt vmcnt(28) lgkmcnt(29)
	v_xor_b32_e32 v21, s76, v23
	v_cmp_lt_u16_e32 vcc_lo, v20, v21
	v_cndmask_b32_e32 v22, v23, v22, vcc_lo
	v_add_co_u32 v20, vcc_lo, 0xfffffe40, v12
	v_add_co_ci_u32_e64 v21, null, -1, v13, vcc_lo
	flat_store_byte v[20:21], v22 glc slc
	s_waitcnt vmcnt(27) lgkmcnt(29)
	v_xor_b32_e32 v20, s76, v69
	s_waitcnt vmcnt(26) lgkmcnt(28)
	v_xor_b32_e32 v21, s76, v80
	v_cmp_lt_u16_e32 vcc_lo, v20, v21
	v_cndmask_b32_e32 v22, v80, v69, vcc_lo
	v_add_co_u32 v20, vcc_lo, 0xfffffe60, v12
	v_add_co_ci_u32_e64 v21, null, -1, v13, vcc_lo
	;; [unrolled: 9-line block ×4, first 2 shown]
	flat_store_byte v[20:21], v22 glc slc
	s_waitcnt vmcnt(20) lgkmcnt(25)
	v_xor_b32_e32 v21, s76, v87
	v_xor_b32_e32 v20, s76, v85
	v_cmp_lt_u16_e32 vcc_lo, v20, v21
	v_cndmask_b32_e32 v22, v87, v85, vcc_lo
	v_add_co_u32 v20, vcc_lo, 0xfffffec0, v12
	v_add_co_ci_u32_e64 v21, null, -1, v13, vcc_lo
	flat_store_byte v[20:21], v22 glc slc
	s_waitcnt vmcnt(19) lgkmcnt(25)
	v_xor_b32_e32 v20, s76, v96
	s_waitcnt vmcnt(18) lgkmcnt(24)
	v_xor_b32_e32 v21, s76, v97
	v_cmp_lt_u16_e32 vcc_lo, v20, v21
	v_cndmask_b32_e32 v22, v97, v96, vcc_lo
	v_add_co_u32 v20, vcc_lo, 0xfffffee0, v12
	v_add_co_ci_u32_e64 v21, null, -1, v13, vcc_lo
	flat_store_byte v[20:21], v22 glc slc
	s_waitcnt vmcnt(17) lgkmcnt(24)
	v_xor_b32_e32 v20, s76, v61
	s_waitcnt vmcnt(16) lgkmcnt(23)
	;; [unrolled: 9-line block ×6, first 2 shown]
	v_xor_b32_e32 v21, s76, v78
	v_cmp_lt_u16_e32 vcc_lo, v20, v21
	v_add_co_u32 v20, s16, 0xffffff80, v12
	v_add_co_ci_u32_e64 v21, null, -1, v13, s16
	v_cndmask_b32_e32 v22, v78, v77, vcc_lo
	flat_store_byte v[20:21], v22 glc slc
	s_waitcnt vmcnt(7) lgkmcnt(19)
	v_xor_b32_e32 v21, s76, v79
	s_waitcnt vmcnt(6) lgkmcnt(18)
	v_xor_b32_e32 v22, s76, v88
	v_add_co_u32 v20, vcc_lo, 0xffffffa0, v12
	v_cmp_lt_u16_e64 s16, v21, v22
	s_waitcnt vmcnt(5) lgkmcnt(17)
	v_xor_b32_e32 v21, s76, v89
	s_waitcnt vmcnt(4) lgkmcnt(16)
	v_xor_b32_e32 v22, s76, v90
	v_cndmask_b32_e64 v69, v88, v79, s16
	v_add_co_u32 v80, s16, 0xffffffe0, v12
	v_cmp_lt_u16_e64 s17, v21, v22
	s_waitcnt vmcnt(3) lgkmcnt(15)
	v_xor_b32_e32 v21, s76, v91
	s_waitcnt vmcnt(2) lgkmcnt(14)
	v_xor_b32_e32 v22, s76, v92
	v_add_co_ci_u32_e64 v81, null, -1, v13, s16
	v_cndmask_b32_e64 v82, v90, v89, s17
	v_add_co_u32 v8, s17, v8, v117
	v_cmp_lt_u16_e64 s18, v21, v22
	s_waitcnt vmcnt(1) lgkmcnt(13)
	v_xor_b32_e32 v21, s76, v93
	s_waitcnt vmcnt(0) lgkmcnt(12)
	v_xor_b32_e32 v22, s76, v94
	v_add_co_ci_u32_e64 v9, null, 0, v9, s17
	v_cndmask_b32_e64 v83, v92, v91, s18
	v_cmp_lt_u16_e64 s19, v21, v22
	v_add_co_u32 v22, s20, 0xffffffc0, v12
	v_add_co_ci_u32_e64 v21, null, -1, v13, vcc_lo
	v_add_co_ci_u32_e64 v23, null, -1, v13, s20
	v_cndmask_b32_e64 v84, v94, v93, s19
	v_cmp_gt_i32_e32 vcc_lo, 1, v18
	flat_store_byte v[20:21], v69 glc slc
	flat_store_byte v[22:23], v82 glc slc
	;; [unrolled: 1-line block ×4, first 2 shown]
	v_add_co_u32 v12, s16, v12, v117
	v_add_co_ci_u32_e64 v13, null, 0, v13, s16
	s_or_b32 s77, vcc_lo, s77
	s_andn2_b32 exec_lo, exec_lo, s77
	s_cbranch_execnz .LBB4_364
; %bb.365:                              ;   in Loop: Header=BB4_272 Depth=3
	s_or_b32 exec_lo, exec_lo, s77
.LBB4_366:                              ;   in Loop: Header=BB4_272 Depth=3
	s_or_b32 exec_lo, exec_lo, s75
	v_lshlrev_b32_e32 v8, 9, v19
	v_cmp_ne_u32_e32 vcc_lo, v15, v8
	s_and_b32 exec_lo, exec_lo, vcc_lo
	s_cbranch_execz .LBB4_370
; %bb.367:                              ;   in Loop: Header=BB4_272 Depth=3
	v_lshlrev_b32_e32 v9, 5, v17
	v_lshlrev_b32_e32 v10, 5, v18
	v_sub_nc_u32_e32 v9, v16, v9
	v_sub_nc_u32_e32 v9, v9, v10
	v_add_nc_u32_e32 v8, v8, v9
	v_sub_nc_u32_e32 v15, v15, v8
	v_cmp_lt_i32_e32 vcc_lo, 0, v15
	s_and_b32 exec_lo, exec_lo, vcc_lo
	s_cbranch_execz .LBB4_370
; %bb.368:                              ;   in Loop: Header=BB4_272 Depth=3
	s_trap 2
	ds_read_b128 v[9:12], v0
	ds_read_b64 v[16:17], v0
	v_add_nc_u32_e32 v13, v8, v14
	s_and_b32 s17, s73, 0xff
	s_mov_b32 s18, 0
	v_ashrrev_i32_e32 v14, 31, v13
	s_waitcnt lgkmcnt(1)
	v_add_co_u32 v8, vcc_lo, v9, v13
	v_add_co_ci_u32_e64 v9, null, v10, v14, vcc_lo
	v_add_co_u32 v10, vcc_lo, v11, v13
	v_add_co_ci_u32_e64 v11, null, v12, v14, vcc_lo
	s_waitcnt lgkmcnt(0)
	v_add_co_u32 v12, vcc_lo, v16, v13
	v_add_co_ci_u32_e64 v13, null, v17, v14, vcc_lo
	.p2align	6
.LBB4_369:                              ;   Parent Loop BB4_47 Depth=1
                                        ;     Parent Loop BB4_269 Depth=2
                                        ;       Parent Loop BB4_272 Depth=3
                                        ; =>      This Inner Loop Header: Depth=4
	flat_load_ubyte v14, v[10:11] slc
	flat_load_ubyte v16, v[8:9] slc
	v_sub_nc_u32_e32 v15, v15, v112
	v_add_co_u32 v8, vcc_lo, v8, v112
	v_add_co_ci_u32_e64 v9, null, 0, v9, vcc_lo
	v_add_co_u32 v10, vcc_lo, v10, v112
	v_add_co_ci_u32_e64 v11, null, 0, v11, vcc_lo
	v_cmp_gt_i32_e32 vcc_lo, 1, v15
	s_or_b32 s18, vcc_lo, s18
	s_waitcnt vmcnt(1) lgkmcnt(1)
	v_xor_b32_e32 v17, s17, v14
	s_waitcnt vmcnt(0) lgkmcnt(0)
	v_xor_b32_e32 v18, s17, v16
	v_cmp_lt_u16_e64 s16, v18, v17
	v_cndmask_b32_e64 v14, v14, v16, s16
	flat_store_byte v[12:13], v14 glc slc
	v_add_co_u32 v12, s16, v12, v112
	v_add_co_ci_u32_e64 v13, null, 0, v13, s16
	s_andn2_b32 exec_lo, exec_lo, s18
	s_cbranch_execnz .LBB4_369
.LBB4_370:                              ;   in Loop: Header=BB4_272 Depth=3
	s_or_b32 exec_lo, exec_lo, s74
	v_cmp_lt_i32_e64 s16, 0, v3
	s_and_saveexec_b32 s17, s6
	s_cbranch_execz .LBB4_347
.LBB4_371:                              ;   in Loop: Header=BB4_272 Depth=3
	s_and_saveexec_b32 s18, s29
	s_xor_b32 s18, exec_lo, s18
	s_cbranch_execz .LBB4_386
; %bb.372:                              ;   in Loop: Header=BB4_272 Depth=3
	s_and_saveexec_b32 s19, s11
	s_cbranch_execz .LBB4_385
; %bb.373:                              ;   in Loop: Header=BB4_272 Depth=3
	s_mov_b32 s21, exec_lo
	s_mov_b32 s20, exec_lo
	v_mbcnt_lo_u32_b32 v3, s21, 0
	s_waitcnt vmcnt(0) lgkmcnt(0)
	s_waitcnt_vscnt null, 0x0
	buffer_gl1_inv
	buffer_gl0_inv
	v_cmpx_eq_u32_e32 0, v3
	s_cbranch_execz .LBB4_375
; %bb.374:                              ;   in Loop: Header=BB4_272 Depth=3
	s_bcnt1_i32_b32 s21, s21
	v_mov_b32_e32 v9, v2
	v_mov_b32_e32 v8, s21
	ds_add_u64 v0, v[8:9]
	s_trap 2
.LBB4_375:                              ;   in Loop: Header=BB4_272 Depth=3
	s_or_b32 exec_lo, exec_lo, s20
	s_trap 2
	ds_read_b64 v[8:9], v0
	s_waitcnt lgkmcnt(0)
	buffer_gl0_inv
	v_add_co_u32 v38, vcc_lo, v38, v101
	v_add_co_ci_u32_e64 v39, null, 0, v39, vcc_lo
	s_mov_b32 s20, exec_lo
	v_cmpx_lt_u64_e64 v[8:9], v[38:39]
	s_cbranch_execz .LBB4_384
; %bb.376:                              ;   in Loop: Header=BB4_272 Depth=3
	s_mov_b32 s21, 0
	s_mov_b32 s75, 0
                                        ; implicit-def: $sgpr73
                                        ; implicit-def: $sgpr74
	s_inst_prefetch 0x1
	s_branch .LBB4_378
	.p2align	6
.LBB4_377:                              ;   in Loop: Header=BB4_378 Depth=4
	s_or_b32 exec_lo, exec_lo, s77
	s_and_b32 s76, exec_lo, s78
	s_or_b32 s21, s76, s21
	s_andn2_b32 s73, s73, exec_lo
	s_and_b32 s76, s74, exec_lo
	s_or_b32 s73, s73, s76
	s_andn2_b32 exec_lo, exec_lo, s21
	s_cbranch_execz .LBB4_382
.LBB4_378:                              ;   Parent Loop BB4_47 Depth=1
                                        ;     Parent Loop BB4_269 Depth=2
                                        ;       Parent Loop BB4_272 Depth=3
                                        ; =>      This Inner Loop Header: Depth=4
	s_add_i32 s75, s75, 1
	s_cmpk_lg_i32 s75, 0x2710
	s_cselect_b32 s76, -1, 0
	s_and_b32 vcc_lo, exec_lo, s76
	s_cbranch_vccz .LBB4_380
; %bb.379:                              ;   in Loop: Header=BB4_378 Depth=4
	s_mov_b32 s78, -1
	s_or_b32 s74, s74, exec_lo
	s_and_saveexec_b32 s77, s76
	s_cbranch_execz .LBB4_377
	s_branch .LBB4_381
	.p2align	6
.LBB4_380:                              ;   in Loop: Header=BB4_378 Depth=4
	s_trap 2
	ds_read_b64 v[8:9], v0
	s_andn2_b32 s76, s76, exec_lo
	s_mov_b32 s75, 0
	s_waitcnt lgkmcnt(0)
	flat_load_dword v3, v[8:9] glc dlc
	s_waitcnt vmcnt(0) lgkmcnt(0)
	buffer_gl1_inv
	buffer_gl0_inv
	v_cmp_eq_u32_e32 vcc_lo, 0, v3
	s_and_b32 s77, vcc_lo, exec_lo
	s_or_b32 s76, s76, s77
	s_mov_b32 s78, -1
	s_or_b32 s74, s74, exec_lo
	s_and_saveexec_b32 s77, s76
	s_cbranch_execz .LBB4_377
.LBB4_381:                              ;   in Loop: Header=BB4_378 Depth=4
	s_sleep 1
	s_trap 2
	ds_read_b64 v[8:9], v0
	s_waitcnt lgkmcnt(0)
	buffer_gl0_inv
	s_andn2_b32 s74, s74, exec_lo
	v_cmp_ge_u64_e32 vcc_lo, v[8:9], v[38:39]
	s_orn2_b32 s78, vcc_lo, exec_lo
	s_branch .LBB4_377
.LBB4_382:                              ;   in Loop: Header=BB4_272 Depth=3
	s_inst_prefetch 0x2
	s_or_b32 exec_lo, exec_lo, s21
	s_and_saveexec_b32 s21, s73
	s_xor_b32 s21, exec_lo, s21
	s_cbranch_execz .LBB4_384
; %bb.383:                              ;   in Loop: Header=BB4_272 Depth=3
	ds_write_b32 v0, v113
	s_trap 2
.LBB4_384:                              ;   in Loop: Header=BB4_272 Depth=3
	s_or_b32 exec_lo, exec_lo, s20
	;;#ASMSTART
	s_wakeup
	;;#ASMEND
.LBB4_385:                              ;   in Loop: Header=BB4_272 Depth=3
	s_or_b32 exec_lo, exec_lo, s19
.LBB4_386:                              ;   in Loop: Header=BB4_272 Depth=3
	s_andn2_saveexec_b32 s18, s18
	s_cbranch_execz .LBB4_388
; %bb.387:                              ;   in Loop: Header=BB4_272 Depth=3
	s_waitcnt vmcnt(0) lgkmcnt(0)
	s_waitcnt_vscnt null, 0x0
	buffer_gl1_inv
	buffer_gl0_inv
	s_barrier
.LBB4_388:                              ;   in Loop: Header=BB4_272 Depth=3
	s_or_b32 exec_lo, exec_lo, s18
	s_or_b32 exec_lo, exec_lo, s17
                                        ; implicit-def: $vgpr3
	s_and_saveexec_b32 s17, s15
	s_xor_b32 s17, exec_lo, s17
	s_cbranch_execnz .LBB4_348
.LBB4_389:                              ;   in Loop: Header=BB4_272 Depth=3
	s_andn2_saveexec_b32 s16, s17
	s_cbranch_execz .LBB4_408
.LBB4_390:                              ;   in Loop: Header=BB4_272 Depth=3
	s_and_saveexec_b32 s17, s29
	s_xor_b32 s17, exec_lo, s17
	s_cbranch_execz .LBB4_405
; %bb.391:                              ;   in Loop: Header=BB4_272 Depth=3
	s_and_saveexec_b32 s18, s11
	s_cbranch_execz .LBB4_404
; %bb.392:                              ;   in Loop: Header=BB4_272 Depth=3
	s_mov_b32 s20, exec_lo
	s_mov_b32 s19, exec_lo
	v_mbcnt_lo_u32_b32 v3, s20, 0
	;;#ASMSTART
	s_waitcnt lgkmcnt(0) vmcnt(0)
	;;#ASMEND
	v_cmpx_eq_u32_e32 0, v3
	s_cbranch_execz .LBB4_394
; %bb.393:                              ;   in Loop: Header=BB4_272 Depth=3
	s_bcnt1_i32_b32 s20, s20
	v_mov_b32_e32 v9, v2
	v_mov_b32_e32 v8, s20
	s_waitcnt vmcnt(0) lgkmcnt(0)
	s_waitcnt_vscnt null, 0x0
	ds_add_u64 v0, v[8:9]
	s_trap 2
.LBB4_394:                              ;   in Loop: Header=BB4_272 Depth=3
	s_or_b32 exec_lo, exec_lo, s19
	s_trap 2
	ds_read_b64 v[8:9], v0
	s_waitcnt vmcnt(0) lgkmcnt(0)
	buffer_gl0_inv
	v_add_co_u32 v38, vcc_lo, v38, v101
	v_add_co_ci_u32_e64 v39, null, 0, v39, vcc_lo
	s_mov_b32 s19, exec_lo
	v_cmpx_lt_u64_e64 v[8:9], v[38:39]
	s_cbranch_execz .LBB4_403
; %bb.395:                              ;   in Loop: Header=BB4_272 Depth=3
	s_mov_b32 s20, 0
	s_mov_b32 s74, 0
                                        ; implicit-def: $sgpr21
                                        ; implicit-def: $sgpr73
	s_inst_prefetch 0x1
	s_branch .LBB4_397
	.p2align	6
.LBB4_396:                              ;   in Loop: Header=BB4_397 Depth=4
	s_or_b32 exec_lo, exec_lo, s76
	s_and_b32 s75, exec_lo, s77
	s_or_b32 s20, s75, s20
	s_andn2_b32 s21, s21, exec_lo
	s_and_b32 s75, s73, exec_lo
	s_or_b32 s21, s21, s75
	s_andn2_b32 exec_lo, exec_lo, s20
	s_cbranch_execz .LBB4_401
.LBB4_397:                              ;   Parent Loop BB4_47 Depth=1
                                        ;     Parent Loop BB4_269 Depth=2
                                        ;       Parent Loop BB4_272 Depth=3
                                        ; =>      This Inner Loop Header: Depth=4
	s_add_i32 s74, s74, 1
	s_cmpk_lg_i32 s74, 0x2710
	s_cselect_b32 s75, -1, 0
	s_and_b32 vcc_lo, exec_lo, s75
	s_cbranch_vccz .LBB4_399
; %bb.398:                              ;   in Loop: Header=BB4_397 Depth=4
	s_mov_b32 s77, -1
	s_or_b32 s73, s73, exec_lo
	s_and_saveexec_b32 s76, s75
	s_cbranch_execz .LBB4_396
	s_branch .LBB4_400
	.p2align	6
.LBB4_399:                              ;   in Loop: Header=BB4_397 Depth=4
	s_trap 2
	ds_read_b64 v[8:9], v0
	s_andn2_b32 s75, s75, exec_lo
	s_mov_b32 s74, 0
	s_waitcnt lgkmcnt(0)
	s_waitcnt_vscnt null, 0x0
	flat_load_dword v3, v[8:9] glc dlc
	s_waitcnt vmcnt(0) lgkmcnt(0)
	buffer_gl1_inv
	buffer_gl0_inv
	v_cmp_eq_u32_e32 vcc_lo, 0, v3
	s_and_b32 s76, vcc_lo, exec_lo
	s_or_b32 s75, s75, s76
	s_mov_b32 s77, -1
	s_or_b32 s73, s73, exec_lo
	s_and_saveexec_b32 s76, s75
	s_cbranch_execz .LBB4_396
.LBB4_400:                              ;   in Loop: Header=BB4_397 Depth=4
	s_sleep 1
	s_trap 2
	ds_read_b64 v[8:9], v0
	s_waitcnt lgkmcnt(0)
	buffer_gl0_inv
	s_andn2_b32 s73, s73, exec_lo
	v_cmp_ge_u64_e32 vcc_lo, v[8:9], v[38:39]
	s_orn2_b32 s77, vcc_lo, exec_lo
	s_branch .LBB4_396
.LBB4_401:                              ;   in Loop: Header=BB4_272 Depth=3
	s_inst_prefetch 0x2
	s_or_b32 exec_lo, exec_lo, s20
	s_and_saveexec_b32 s20, s21
	s_xor_b32 s20, exec_lo, s20
	s_cbranch_execz .LBB4_403
; %bb.402:                              ;   in Loop: Header=BB4_272 Depth=3
	ds_write_b32 v0, v113
	s_trap 2
.LBB4_403:                              ;   in Loop: Header=BB4_272 Depth=3
	s_or_b32 exec_lo, exec_lo, s19
	;;#ASMSTART
	s_wakeup
	;;#ASMEND
.LBB4_404:                              ;   in Loop: Header=BB4_272 Depth=3
	s_or_b32 exec_lo, exec_lo, s18
.LBB4_405:                              ;   in Loop: Header=BB4_272 Depth=3
	s_andn2_saveexec_b32 s17, s17
	s_cbranch_execz .LBB4_407
; %bb.406:                              ;   in Loop: Header=BB4_272 Depth=3
	;;#ASMSTART
	s_waitcnt lgkmcnt(0) vmcnt(0)
	;;#ASMEND
	s_barrier
.LBB4_407:                              ;   in Loop: Header=BB4_272 Depth=3
	s_or_b32 exec_lo, exec_lo, s17
	v_and_b32_e32 v3, 16, v98
.LBB4_408:                              ;   in Loop: Header=BB4_272 Depth=3
	s_or_b32 exec_lo, exec_lo, s16
	v_cmp_ne_u32_e32 vcc_lo, 0, v3
	s_xor_b32 s16, s7, -1
	s_and_b32 s17, vcc_lo, s16
	s_and_saveexec_b32 s16, s17
	s_cbranch_execz .LBB4_410
; %bb.409:                              ;   in Loop: Header=BB4_272 Depth=3
	s_waitcnt vmcnt(0) lgkmcnt(0)
	s_waitcnt_vscnt null, 0x0
	flat_store_dword v[36:37], v113
.LBB4_410:                              ;   in Loop: Header=BB4_272 Depth=3
	s_or_b32 exec_lo, exec_lo, s16
	v_and_b32_e32 v3, 48, v98
	s_mov_b32 s16, exec_lo
	v_cmpx_ne_u32_e32 0, v3
	s_cbranch_execz .LBB4_271
; %bb.411:                              ;   in Loop: Header=BB4_272 Depth=3
	v_add_co_u32 v64, vcc_lo, v64, 2
	v_add_co_ci_u32_e64 v65, null, 0, v65, vcc_lo
	s_waitcnt vmcnt(0) lgkmcnt(0)
	s_waitcnt_vscnt null, 0x0
	flat_store_dwordx2 v[32:33], v[64:65]
	s_branch .LBB4_271
.LBB4_412:                              ;   in Loop: Header=BB4_269 Depth=2
	s_or_b32 exec_lo, exec_lo, s62
.LBB4_413:                              ;   in Loop: Header=BB4_269 Depth=2
	s_or_b32 exec_lo, exec_lo, s61
	s_mov_b32 s17, exec_lo
	v_cmpx_gt_i32_e32 2, v3
	s_cbranch_execz .LBB4_268
; %bb.414:                              ;   in Loop: Header=BB4_269 Depth=2
	v_cmp_eq_u32_e64 s19, 0, v3
	s_mov_b32 s18, 0
	s_branch .LBB4_416
.LBB4_415:                              ;   in Loop: Header=BB4_416 Depth=3
	s_or_b32 exec_lo, exec_lo, s16
	v_add_nc_u32_e32 v60, v68, v60
	s_mov_b32 s19, 0
	s_andn2_b32 exec_lo, exec_lo, s18
	s_cbranch_execz .LBB4_267
.LBB4_416:                              ;   Parent Loop BB4_47 Depth=1
                                        ;     Parent Loop BB4_269 Depth=2
                                        ; =>    This Loop Header: Depth=3
                                        ;         Child Loop BB4_422 Depth 4
                                        ;         Child Loop BB4_450 Depth 4
	;; [unrolled: 1-line block ×3, first 2 shown]
	v_sub_nc_u32_e32 v3, v59, v60
	v_and_b32_e32 v8, 12, v98
	s_mov_b32 s20, exec_lo
	v_min_i32_e32 v68, v68, v3
	v_cmpx_ne_u32_e32 0, v8
	s_cbranch_execz .LBB4_442
; %bb.417:                              ;   in Loop: Header=BB4_416 Depth=3
	v_and_b32_e32 v3, 8, v98
	s_mov_b32 s21, exec_lo
	s_waitcnt vmcnt(0) lgkmcnt(1)
	v_add_co_u32 v10, vcc_lo, v48, v3
	v_add_co_ci_u32_e64 v11, null, 0, v49, vcc_lo
	v_add_co_u32 v8, vcc_lo, v64, 2
	v_add_co_ci_u32_e64 v9, null, 0, v65, vcc_lo
	v_cmpx_lt_u64_e64 v[10:11], v[8:9]
	s_cbranch_execz .LBB4_429
; %bb.418:                              ;   in Loop: Header=BB4_416 Depth=3
	v_and_b32_e32 v10, 64, v98
	s_mov_b32 s61, 0
	s_mov_b32 s73, 0
                                        ; implicit-def: $sgpr62
                                        ; implicit-def: $sgpr63
                                        ; implicit-def: $sgpr72
	v_cmp_eq_u32_e32 vcc_lo, 0, v10
	s_branch .LBB4_422
.LBB4_419:                              ;   in Loop: Header=BB4_422 Depth=4
	s_waitcnt vmcnt(0) lgkmcnt(0)
	v_add_co_u32 v11, s16, v48, v3
	v_add_co_ci_u32_e64 v12, null, 0, v49, s16
	s_or_b32 s76, s76, exec_lo
	v_cmp_ge_u64_e64 s16, v[11:12], v[8:9]
	s_orn2_b32 s75, s16, exec_lo
.LBB4_420:                              ;   in Loop: Header=BB4_422 Depth=4
	s_or_b32 exec_lo, exec_lo, s78
	s_andn2_b32 s16, s72, exec_lo
	s_and_b32 s72, s76, exec_lo
	s_andn2_b32 s63, s63, exec_lo
	s_and_b32 s75, s75, exec_lo
	s_or_b32 s72, s16, s72
	s_or_b32 s63, s63, s75
.LBB4_421:                              ;   in Loop: Header=BB4_422 Depth=4
	s_or_b32 exec_lo, exec_lo, s74
	s_and_b32 s16, exec_lo, s63
	s_or_b32 s61, s16, s61
	s_andn2_b32 s16, s62, exec_lo
	s_and_b32 s62, s72, exec_lo
	s_or_b32 s62, s16, s62
	s_andn2_b32 exec_lo, exec_lo, s61
	s_cbranch_execz .LBB4_426
.LBB4_422:                              ;   Parent Loop BB4_47 Depth=1
                                        ;     Parent Loop BB4_269 Depth=2
                                        ;       Parent Loop BB4_416 Depth=3
                                        ; =>      This Inner Loop Header: Depth=4
	s_sleep 1
	s_waitcnt vmcnt(0) lgkmcnt(0)
	flat_load_dwordx2 v[48:49], v[32:33] glc dlc
	s_or_b32 s72, s72, exec_lo
	s_or_b32 s63, s63, exec_lo
                                        ; implicit-def: $vgpr10
	s_and_saveexec_b32 s74, vcc_lo
	s_cbranch_execz .LBB4_421
; %bb.423:                              ;   in Loop: Header=BB4_422 Depth=4
	s_cmpk_lt_i32 s73, 0x270f
	s_mov_b32 s75, -1
	s_cselect_b32 s77, -1, 0
	s_cmpk_gt_i32 s73, 0x270e
	s_cbranch_scc0 .LBB4_425
; %bb.424:                              ;   in Loop: Header=BB4_422 Depth=4
	s_trap 2
	ds_read_b64 v[10:11], v0
	s_andn2_b32 s73, s77, exec_lo
	s_mov_b32 s76, 0
	s_waitcnt vmcnt(0) lgkmcnt(0)
	s_waitcnt_vscnt null, 0x0
	flat_load_dword v10, v[10:11] glc dlc
	s_waitcnt vmcnt(0) lgkmcnt(0)
	buffer_gl1_inv
	buffer_gl0_inv
	v_cmp_eq_u32_e64 s16, 0, v10
	s_and_b32 s16, s16, exec_lo
	s_or_b32 s77, s73, s16
	s_mov_b32 s73, 0
	s_and_saveexec_b32 s78, s77
	s_cbranch_execz .LBB4_420
	s_branch .LBB4_419
.LBB4_425:                              ;   in Loop: Header=BB4_422 Depth=4
	s_add_i32 s73, s73, 1
	s_mov_b32 s76, -1
                                        ; implicit-def: $vgpr10
	s_and_saveexec_b32 s78, s77
	s_cbranch_execz .LBB4_420
	s_branch .LBB4_419
.LBB4_426:                              ;   in Loop: Header=BB4_416 Depth=3
	s_or_b32 exec_lo, exec_lo, s61
	s_xor_b32 s16, s62, -1
	s_and_saveexec_b32 s61, s16
	s_xor_b32 s16, exec_lo, s61
	s_cbranch_execz .LBB4_428
; %bb.427:                              ;   in Loop: Header=BB4_416 Depth=3
	v_or_b32_e32 v98, 64, v98
	s_waitcnt vmcnt(0) lgkmcnt(0)
	s_waitcnt_vscnt null, 0x0
	ds_write_b32 v0, v10
	s_trap 2
.LBB4_428:                              ;   in Loop: Header=BB4_416 Depth=3
	s_or_b32 exec_lo, exec_lo, s16
.LBB4_429:                              ;   in Loop: Header=BB4_416 Depth=3
	s_or_b32 exec_lo, exec_lo, s21
	v_and_b32_e32 v10, 0x108, v98
	;;#ASMSTART
	s_wakeup
	;;#ASMEND
	v_cmp_ne_u32_e32 vcc_lo, 0x108, v10
                                        ; implicit-def: $vgpr10_vgpr11
	s_and_saveexec_b32 s16, vcc_lo
	s_xor_b32 s16, exec_lo, s16
; %bb.430:                              ;   in Loop: Header=BB4_416 Depth=3
	v_and_b32_e32 v10, 7, v64
	v_mov_b32_e32 v11, v2
                                        ; implicit-def: $vgpr64_vgpr65
; %bb.431:                              ;   in Loop: Header=BB4_416 Depth=3
	s_andn2_saveexec_b32 s16, s16
	s_cbranch_execz .LBB4_433
; %bb.432:                              ;   in Loop: Header=BB4_416 Depth=3
	v_and_b32_e32 v10, 7, v64
	v_ashrrev_i32_e32 v69, 31, v68
	v_mov_b32_e32 v11, v2
	v_mad_u64_u32 v[12:13], null, v10, 24, v[6:7]
	flat_store_dwordx2 v[12:13], v[68:69] offset:8
.LBB4_433:                              ;   in Loop: Header=BB4_416 Depth=3
	s_or_b32 exec_lo, exec_lo, s16
	v_and_b32_e32 v12, 0x100, v98
	s_mov_b32 s16, -1
	v_cmp_ne_u32_e32 vcc_lo, 0, v12
                                        ; implicit-def: $vgpr12_vgpr13
	s_and_saveexec_b32 s21, vcc_lo
	s_cbranch_execz .LBB4_437
; %bb.434:                              ;   in Loop: Header=BB4_416 Depth=3
	v_mad_u64_u32 v[14:15], null, v10, 24, v[6:7]
	v_mov_b32_e32 v12, v15
	v_mad_u64_u32 v[12:13], null, v11, 24, v[12:13]
	v_mov_b32_e32 v15, v12
	flat_load_dword v12, v[14:15]
	s_waitcnt vmcnt(0) lgkmcnt(0)
	v_cmp_eq_u32_e64 s16, 1, v12
	v_cmp_ne_u32_e32 vcc_lo, 1, v12
                                        ; implicit-def: $vgpr12_vgpr13
	s_and_saveexec_b32 s61, s16
	s_cbranch_execz .LBB4_436
; %bb.435:                              ;   in Loop: Header=BB4_416 Depth=3
	flat_load_dword v12, v[14:15] offset:4 glc dlc
	s_waitcnt vmcnt(0) lgkmcnt(0)
	v_ashrrev_i32_e32 v13, 31, v12
.LBB4_436:                              ;   in Loop: Header=BB4_416 Depth=3
	s_or_b32 exec_lo, exec_lo, s61
	s_orn2_b32 s16, vcc_lo, exec_lo
.LBB4_437:                              ;   in Loop: Header=BB4_416 Depth=3
	s_or_b32 exec_lo, exec_lo, s21
	s_and_saveexec_b32 s21, s16
; %bb.438:                              ;   in Loop: Header=BB4_416 Depth=3
	v_mul_lo_u32 v11, v11, v99
	v_mul_lo_u32 v14, v10, v100
	v_mad_u64_u32 v[12:13], null, v10, v99, 0
	v_add3_u32 v13, v13, v14, v11
; %bb.439:                              ;   in Loop: Header=BB4_416 Depth=3
	s_or_b32 exec_lo, exec_lo, s21
	v_cmp_eq_u32_e32 vcc_lo, 0, v3
	v_and_b32_e32 v14, 0x2000, v98
	s_mov_b32 s16, exec_lo
	v_cndmask_b32_e32 v3, 0xc8, v114, vcc_lo
	v_add_co_u32 v10, vcc_lo, v34, v12
	v_add_co_ci_u32_e64 v11, null, v35, v13, vcc_lo
	v_add_nc_u32_e32 v3, v0, v3
	ds_write_b64 v3, v[10:11] offset:584
	v_cmpx_ne_u32_e32 0, v14
	s_cbranch_execz .LBB4_441
; %bb.440:                              ;   in Loop: Header=BB4_416 Depth=3
	ds_read_b64 v[10:11], v0 offset:872
	s_waitcnt lgkmcnt(0)
	v_add_co_u32 v10, vcc_lo, v10, 1
	v_add_co_ci_u32_e64 v11, null, 0, v11, vcc_lo
	ds_write_b64 v0, v[10:11] offset:872
.LBB4_441:                              ;   in Loop: Header=BB4_416 Depth=3
	s_or_b32 exec_lo, exec_lo, s16
	v_mov_b32_e32 v65, v9
	v_mov_b32_e32 v64, v8
.LBB4_442:                              ;   in Loop: Header=BB4_416 Depth=3
	s_or_b32 exec_lo, exec_lo, s20
	s_xor_b32 s16, s19, -1
	s_and_b32 s16, exec_lo, s16
	s_or_b32 s18, s16, s18
	s_and_saveexec_b32 s16, s6
	s_cbranch_execz .LBB4_461
; %bb.443:                              ;   in Loop: Header=BB4_416 Depth=3
	s_and_saveexec_b32 s19, s29
	s_xor_b32 s19, exec_lo, s19
	s_cbranch_execz .LBB4_458
; %bb.444:                              ;   in Loop: Header=BB4_416 Depth=3
	s_and_saveexec_b32 s20, s11
	s_cbranch_execz .LBB4_457
; %bb.445:                              ;   in Loop: Header=BB4_416 Depth=3
	s_mov_b32 s61, exec_lo
	s_mov_b32 s21, exec_lo
	v_mbcnt_lo_u32_b32 v3, s61, 0
	s_waitcnt vmcnt(0) lgkmcnt(0)
	s_waitcnt_vscnt null, 0x0
	buffer_gl1_inv
	buffer_gl0_inv
	v_cmpx_eq_u32_e32 0, v3
	s_cbranch_execz .LBB4_447
; %bb.446:                              ;   in Loop: Header=BB4_416 Depth=3
	s_bcnt1_i32_b32 s61, s61
	v_mov_b32_e32 v9, v2
	v_mov_b32_e32 v8, s61
	ds_add_u64 v0, v[8:9]
	s_trap 2
.LBB4_447:                              ;   in Loop: Header=BB4_416 Depth=3
	s_or_b32 exec_lo, exec_lo, s21
	s_trap 2
	ds_read_b64 v[8:9], v0
	s_waitcnt lgkmcnt(0)
	buffer_gl0_inv
	v_add_co_u32 v38, vcc_lo, v38, v101
	v_add_co_ci_u32_e64 v39, null, 0, v39, vcc_lo
	s_mov_b32 s21, exec_lo
	v_cmpx_lt_u64_e64 v[8:9], v[38:39]
	s_cbranch_execz .LBB4_456
; %bb.448:                              ;   in Loop: Header=BB4_416 Depth=3
	s_mov_b32 s61, 0
	s_mov_b32 s72, 0
                                        ; implicit-def: $sgpr62
                                        ; implicit-def: $sgpr63
	s_inst_prefetch 0x1
	s_branch .LBB4_450
	.p2align	6
.LBB4_449:                              ;   in Loop: Header=BB4_450 Depth=4
	s_or_b32 exec_lo, exec_lo, s74
	s_and_b32 s73, exec_lo, s75
	s_or_b32 s61, s73, s61
	s_andn2_b32 s62, s62, exec_lo
	s_and_b32 s73, s63, exec_lo
	s_or_b32 s62, s62, s73
	s_andn2_b32 exec_lo, exec_lo, s61
	s_cbranch_execz .LBB4_454
.LBB4_450:                              ;   Parent Loop BB4_47 Depth=1
                                        ;     Parent Loop BB4_269 Depth=2
                                        ;       Parent Loop BB4_416 Depth=3
                                        ; =>      This Inner Loop Header: Depth=4
	s_add_i32 s72, s72, 1
	s_cmpk_lg_i32 s72, 0x2710
	s_cselect_b32 s73, -1, 0
	s_and_b32 vcc_lo, exec_lo, s73
	s_cbranch_vccz .LBB4_452
; %bb.451:                              ;   in Loop: Header=BB4_450 Depth=4
	s_mov_b32 s75, -1
	s_or_b32 s63, s63, exec_lo
	s_and_saveexec_b32 s74, s73
	s_cbranch_execz .LBB4_449
	s_branch .LBB4_453
	.p2align	6
.LBB4_452:                              ;   in Loop: Header=BB4_450 Depth=4
	s_trap 2
	ds_read_b64 v[8:9], v0
	s_andn2_b32 s73, s73, exec_lo
	s_mov_b32 s72, 0
	s_waitcnt lgkmcnt(0)
	flat_load_dword v3, v[8:9] glc dlc
	s_waitcnt vmcnt(0) lgkmcnt(0)
	buffer_gl1_inv
	buffer_gl0_inv
	v_cmp_eq_u32_e32 vcc_lo, 0, v3
	s_and_b32 s74, vcc_lo, exec_lo
	s_or_b32 s73, s73, s74
	s_mov_b32 s75, -1
	s_or_b32 s63, s63, exec_lo
	s_and_saveexec_b32 s74, s73
	s_cbranch_execz .LBB4_449
.LBB4_453:                              ;   in Loop: Header=BB4_450 Depth=4
	s_sleep 1
	s_trap 2
	ds_read_b64 v[8:9], v0
	s_waitcnt lgkmcnt(0)
	buffer_gl0_inv
	s_andn2_b32 s63, s63, exec_lo
	v_cmp_ge_u64_e32 vcc_lo, v[8:9], v[38:39]
	s_orn2_b32 s75, vcc_lo, exec_lo
	s_branch .LBB4_449
.LBB4_454:                              ;   in Loop: Header=BB4_416 Depth=3
	s_inst_prefetch 0x2
	s_or_b32 exec_lo, exec_lo, s61
	s_and_saveexec_b32 s61, s62
	s_xor_b32 s61, exec_lo, s61
	s_cbranch_execz .LBB4_456
; %bb.455:                              ;   in Loop: Header=BB4_416 Depth=3
	ds_write_b32 v0, v113
	s_trap 2
.LBB4_456:                              ;   in Loop: Header=BB4_416 Depth=3
	s_or_b32 exec_lo, exec_lo, s21
	;;#ASMSTART
	s_wakeup
	;;#ASMEND
.LBB4_457:                              ;   in Loop: Header=BB4_416 Depth=3
	s_or_b32 exec_lo, exec_lo, s20
.LBB4_458:                              ;   in Loop: Header=BB4_416 Depth=3
	s_andn2_saveexec_b32 s19, s19
	s_cbranch_execz .LBB4_460
; %bb.459:                              ;   in Loop: Header=BB4_416 Depth=3
	s_waitcnt vmcnt(0) lgkmcnt(0)
	s_waitcnt_vscnt null, 0x0
	buffer_gl1_inv
	buffer_gl0_inv
	s_barrier
.LBB4_460:                              ;   in Loop: Header=BB4_416 Depth=3
	s_or_b32 exec_lo, exec_lo, s19
.LBB4_461:                              ;   in Loop: Header=BB4_416 Depth=3
	s_or_b32 exec_lo, exec_lo, s16
                                        ; implicit-def: $vgpr3
	s_and_saveexec_b32 s16, s47
	s_xor_b32 s16, exec_lo, s16
	s_cbranch_execz .LBB4_473
; %bb.462:                              ;   in Loop: Header=BB4_416 Depth=3
	s_and_saveexec_b32 s19, s29
	s_xor_b32 s19, exec_lo, s19
	s_cbranch_execz .LBB4_478
; %bb.463:                              ;   in Loop: Header=BB4_416 Depth=3
	s_and_saveexec_b32 s20, s11
	s_cbranch_execz .LBB4_477
; %bb.464:                              ;   in Loop: Header=BB4_416 Depth=3
	s_mov_b32 s61, exec_lo
	s_mov_b32 s21, exec_lo
	v_mbcnt_lo_u32_b32 v3, s61, 0
	;;#ASMSTART
	s_waitcnt lgkmcnt(0) vmcnt(0)
	;;#ASMEND
	v_cmpx_eq_u32_e32 0, v3
	s_cbranch_execz .LBB4_466
; %bb.465:                              ;   in Loop: Header=BB4_416 Depth=3
	s_bcnt1_i32_b32 s61, s61
	v_mov_b32_e32 v9, v2
	v_mov_b32_e32 v8, s61
	s_waitcnt vmcnt(0) lgkmcnt(0)
	s_waitcnt_vscnt null, 0x0
	ds_add_u64 v0, v[8:9]
	s_trap 2
.LBB4_466:                              ;   in Loop: Header=BB4_416 Depth=3
	s_or_b32 exec_lo, exec_lo, s21
	s_trap 2
	ds_read_b64 v[8:9], v0
	s_waitcnt vmcnt(0) lgkmcnt(0)
	buffer_gl0_inv
	v_add_co_u32 v38, vcc_lo, v38, v101
	v_add_co_ci_u32_e64 v39, null, 0, v39, vcc_lo
	s_mov_b32 s21, exec_lo
	v_cmpx_lt_u64_e64 v[8:9], v[38:39]
	s_cbranch_execz .LBB4_476
; %bb.467:                              ;   in Loop: Header=BB4_416 Depth=3
	s_mov_b32 s61, 0
	s_mov_b32 s72, 0
                                        ; implicit-def: $sgpr62
                                        ; implicit-def: $sgpr63
	s_inst_prefetch 0x1
	s_branch .LBB4_469
	.p2align	6
.LBB4_468:                              ;   in Loop: Header=BB4_469 Depth=4
	s_or_b32 exec_lo, exec_lo, s74
	s_and_b32 s73, exec_lo, s75
	s_or_b32 s61, s73, s61
	s_andn2_b32 s62, s62, exec_lo
	s_and_b32 s73, s63, exec_lo
	s_or_b32 s62, s62, s73
	s_andn2_b32 exec_lo, exec_lo, s61
	s_cbranch_execz .LBB4_474
.LBB4_469:                              ;   Parent Loop BB4_47 Depth=1
                                        ;     Parent Loop BB4_269 Depth=2
                                        ;       Parent Loop BB4_416 Depth=3
                                        ; =>      This Inner Loop Header: Depth=4
	s_add_i32 s72, s72, 1
	s_cmpk_lg_i32 s72, 0x2710
	s_cselect_b32 s73, -1, 0
	s_and_b32 vcc_lo, exec_lo, s73
	s_cbranch_vccz .LBB4_471
; %bb.470:                              ;   in Loop: Header=BB4_469 Depth=4
	s_mov_b32 s75, -1
	s_or_b32 s63, s63, exec_lo
	s_and_saveexec_b32 s74, s73
	s_cbranch_execz .LBB4_468
	s_branch .LBB4_472
	.p2align	6
.LBB4_471:                              ;   in Loop: Header=BB4_469 Depth=4
	s_trap 2
	ds_read_b64 v[8:9], v0
	s_andn2_b32 s73, s73, exec_lo
	s_mov_b32 s72, 0
	s_waitcnt lgkmcnt(0)
	s_waitcnt_vscnt null, 0x0
	flat_load_dword v3, v[8:9] glc dlc
	s_waitcnt vmcnt(0) lgkmcnt(0)
	buffer_gl1_inv
	buffer_gl0_inv
	v_cmp_eq_u32_e32 vcc_lo, 0, v3
	s_and_b32 s74, vcc_lo, exec_lo
	s_or_b32 s73, s73, s74
	s_mov_b32 s75, -1
	s_or_b32 s63, s63, exec_lo
	s_and_saveexec_b32 s74, s73
	s_cbranch_execz .LBB4_468
.LBB4_472:                              ;   in Loop: Header=BB4_469 Depth=4
	s_sleep 1
	s_trap 2
	ds_read_b64 v[8:9], v0
	s_waitcnt lgkmcnt(0)
	buffer_gl0_inv
	s_andn2_b32 s63, s63, exec_lo
	v_cmp_ge_u64_e32 vcc_lo, v[8:9], v[38:39]
	s_orn2_b32 s75, vcc_lo, exec_lo
	s_branch .LBB4_468
.LBB4_473:                              ;   in Loop: Header=BB4_416 Depth=3
	s_andn2_saveexec_b32 s19, s16
	s_cbranch_execnz .LBB4_481
	s_branch .LBB4_484
.LBB4_474:                              ;   in Loop: Header=BB4_416 Depth=3
	s_inst_prefetch 0x2
	s_or_b32 exec_lo, exec_lo, s61
	s_and_saveexec_b32 s61, s62
	s_xor_b32 s61, exec_lo, s61
	s_cbranch_execz .LBB4_476
; %bb.475:                              ;   in Loop: Header=BB4_416 Depth=3
	ds_write_b32 v0, v113
	s_trap 2
.LBB4_476:                              ;   in Loop: Header=BB4_416 Depth=3
	s_or_b32 exec_lo, exec_lo, s21
	;;#ASMSTART
	s_wakeup
	;;#ASMEND
.LBB4_477:                              ;   in Loop: Header=BB4_416 Depth=3
	s_or_b32 exec_lo, exec_lo, s20
.LBB4_478:                              ;   in Loop: Header=BB4_416 Depth=3
	s_andn2_saveexec_b32 s19, s19
	s_cbranch_execz .LBB4_480
; %bb.479:                              ;   in Loop: Header=BB4_416 Depth=3
	;;#ASMSTART
	s_waitcnt lgkmcnt(0) vmcnt(0)
	;;#ASMEND
	s_barrier
.LBB4_480:                              ;   in Loop: Header=BB4_416 Depth=3
	s_or_b32 exec_lo, exec_lo, s19
	v_and_b32_e32 v3, 16, v98
	s_andn2_saveexec_b32 s19, s16
	s_cbranch_execz .LBB4_484
.LBB4_481:                              ;   in Loop: Header=BB4_416 Depth=3
	s_trap 2
	ds_read_b32 v3, v0
	v_cmp_lt_i32_e32 vcc_lo, 0, v68
	s_waitcnt lgkmcnt(0)
	v_readfirstlane_b32 s16, v3
	v_and_b32_e32 v3, 16, v98
	s_cmp_eq_u32 s16, 0
	v_cmp_ne_u32_e64 s16, 0, v3
	s_cselect_b32 s20, -1, 0
	v_and_b32_e32 v3, 16, v98
	s_and_b32 s20, vcc_lo, s20
	s_and_b32 s20, s16, s20
	s_and_saveexec_b32 s16, s20
	s_cbranch_execz .LBB4_483
; %bb.482:                              ;   in Loop: Header=BB4_416 Depth=3
	v_mov_b32_e32 v3, 1
	s_waitcnt vmcnt(0)
	s_waitcnt_vscnt null, 0x0
	buffer_gl1_inv
	buffer_gl0_inv
.LBB4_483:                              ;   in Loop: Header=BB4_416 Depth=3
	s_or_b32 exec_lo, exec_lo, s16
.LBB4_484:                              ;   in Loop: Header=BB4_416 Depth=3
	s_or_b32 exec_lo, exec_lo, s19
	v_cmp_ne_u32_e32 vcc_lo, 0, v3
	s_xor_b32 s16, s7, -1
	s_and_b32 s19, vcc_lo, s16
	s_and_saveexec_b32 s16, s19
	s_cbranch_execz .LBB4_486
; %bb.485:                              ;   in Loop: Header=BB4_416 Depth=3
	s_waitcnt vmcnt(0) lgkmcnt(0)
	s_waitcnt_vscnt null, 0x0
	flat_store_dword v[36:37], v113
.LBB4_486:                              ;   in Loop: Header=BB4_416 Depth=3
	s_or_b32 exec_lo, exec_lo, s16
	v_and_b32_e32 v3, 48, v98
	s_mov_b32 s16, exec_lo
	v_cmpx_ne_u32_e32 0, v3
	s_cbranch_execz .LBB4_415
; %bb.487:                              ;   in Loop: Header=BB4_416 Depth=3
	v_add_co_u32 v64, vcc_lo, v64, 2
	v_add_co_ci_u32_e64 v65, null, 0, v65, vcc_lo
	s_waitcnt vmcnt(0) lgkmcnt(0)
	s_waitcnt_vscnt null, 0x0
	flat_store_dwordx2 v[32:33], v[64:65]
	s_branch .LBB4_415
.LBB4_488:                              ;   in Loop: Header=BB4_47 Depth=1
	v_mul_lo_u32 v3, v55, s25
	v_mul_lo_u32 v10, v54, s28
	v_mad_u64_u32 v[8:9], null, v54, s25, 0
	v_mov_b32_e32 v71, 0
	v_add3_u32 v9, v9, v10, v3
	v_sub_co_u32 v10, vcc_lo, v66, v8
	v_sub_co_ci_u32_e64 v11, null, v67, v9, vcc_lo
	v_cmp_lt_i64_e32 vcc_lo, v[54:55], v[10:11]
	v_cndmask_b32_e32 v11, v10, v54, vcc_lo
	v_max_i32_e32 v3, 0, v11
	v_cmp_lt_i32_e32 vcc_lo, 0, v11
	v_add_nc_u32_e32 v10, 31, v3
	s_and_b32 s16, s57, vcc_lo
	v_lshrrev_b32_e32 v10, 1, v10
	v_and_b32_e32 v12, 0x3ffffff0, v10
	v_mov_b32_e32 v10, 0
	v_max_i32_e32 v68, s45, v12
	s_and_saveexec_b32 s23, s16
	s_cbranch_execz .LBB4_665
; %bb.489:                              ;   in Loop: Header=BB4_47 Depth=1
	v_add_co_u32 v96, vcc_lo, v8, v57
	v_add_co_ci_u32_e64 v97, null, v9, v58, vcc_lo
	v_mov_b32_e32 v71, 0
	s_mov_b32 s63, 1
	s_mov_b32 s62, -1
	s_mov_b32 s61, 0
	s_branch .LBB4_491
.LBB4_490:                              ;   in Loop: Header=BB4_491 Depth=2
	s_or_b32 exec_lo, exec_lo, s16
	v_add_nc_u32_e32 v71, v68, v71
	s_xor_b32 s16, s62, -1
	v_mov_b32_e32 v10, s63
	s_mov_b32 s62, 0
	s_mov_b32 s63, 2
	v_cmp_ge_i32_e32 vcc_lo, v71, v3
	s_or_b32 s16, s16, vcc_lo
	s_and_b32 s16, exec_lo, s16
	s_or_b32 s61, s16, s61
	s_andn2_b32 exec_lo, exec_lo, s61
	s_cbranch_execz .LBB4_664
.LBB4_491:                              ;   Parent Loop BB4_47 Depth=1
                                        ; =>  This Loop Header: Depth=2
                                        ;       Child Loop BB4_499 Depth 3
                                        ;       Child Loop BB4_527 Depth 3
	;; [unrolled: 1-line block ×5, first 2 shown]
                                        ;         Child Loop BB4_579 Depth 4
                                        ;       Child Loop BB4_586 Depth 3
                                        ;       Child Loop BB4_591 Depth 3
                                        ;         Child Loop BB4_592 Depth 4
                                        ;       Child Loop BB4_604 Depth 3
                                        ;       Child Loop BB4_609 Depth 3
	;; [unrolled: 1-line block ×6, first 2 shown]
	s_and_saveexec_b32 s17, s4
	s_cbranch_execz .LBB4_493
; %bb.492:                              ;   in Loop: Header=BB4_491 Depth=2
	s_trap 2
	ds_read2_b64 v[8:11], v0 offset1:1
	ds_read_b64 v[12:13], v0
	v_ashrrev_i32_e32 v14, 31, v71
	s_waitcnt lgkmcnt(1)
	v_add_co_u32 v8, vcc_lo, v8, v96
	v_add_co_ci_u32_e64 v9, null, v9, v97, vcc_lo
	v_add_co_u32 v10, vcc_lo, v10, v96
	v_add_co_ci_u32_e64 v11, null, v11, v97, vcc_lo
	s_waitcnt lgkmcnt(0)
	v_add_co_u32 v15, vcc_lo, v12, v96
	v_add_co_ci_u32_e64 v16, null, v13, v97, vcc_lo
	v_add_co_u32 v8, vcc_lo, v8, v71
	v_add_co_ci_u32_e64 v9, null, v9, v14, vcc_lo
	;; [unrolled: 2-line block ×3, first 2 shown]
	v_cmp_ne_u64_e32 vcc_lo, 0, v[12:13]
	v_add_co_u32 v10, s16, v10, v71
	v_add_co_ci_u32_e64 v11, null, v11, v14, s16
	v_cndmask_b32_e32 v13, 0, v16, vcc_lo
	v_cndmask_b32_e32 v12, 0, v15, vcc_lo
	ds_write_b64 v0, v[8:9]
	ds_write_b64 v0, v[10:11]
	;; [unrolled: 1-line block ×3, first 2 shown]
.LBB4_493:                              ;   in Loop: Header=BB4_491 Depth=2
	s_or_b32 exec_lo, exec_lo, s17
	v_sub_nc_u32_e32 v8, v3, v71
	v_and_b32_e32 v9, 12, v98
	s_mov_b32 s17, exec_lo
	v_min_i32_e32 v68, v68, v8
	v_cmpx_ne_u32_e32 0, v9
	s_cbranch_execz .LBB4_519
; %bb.494:                              ;   in Loop: Header=BB4_491 Depth=2
	v_and_b32_e32 v16, 8, v98
	s_mov_b32 s18, exec_lo
	s_waitcnt vmcnt(0) lgkmcnt(1)
	v_add_co_u32 v10, vcc_lo, v48, v16
	v_add_co_ci_u32_e64 v11, null, 0, v49, vcc_lo
	v_add_co_u32 v8, vcc_lo, v64, 2
	v_add_co_ci_u32_e64 v9, null, 0, v65, vcc_lo
	v_cmpx_lt_u64_e64 v[10:11], v[8:9]
	s_cbranch_execz .LBB4_506
; %bb.495:                              ;   in Loop: Header=BB4_491 Depth=2
	v_and_b32_e32 v10, 64, v98
	s_mov_b32 s19, 0
	s_mov_b32 s73, 0
                                        ; implicit-def: $sgpr20
                                        ; implicit-def: $sgpr21
                                        ; implicit-def: $sgpr72
	v_cmp_eq_u32_e32 vcc_lo, 0, v10
	s_branch .LBB4_499
.LBB4_496:                              ;   in Loop: Header=BB4_499 Depth=3
	s_waitcnt vmcnt(0) lgkmcnt(0)
	v_add_co_u32 v11, s16, v48, v16
	v_add_co_ci_u32_e64 v12, null, 0, v49, s16
	s_or_b32 s76, s76, exec_lo
	v_cmp_ge_u64_e64 s16, v[11:12], v[8:9]
	s_orn2_b32 s75, s16, exec_lo
.LBB4_497:                              ;   in Loop: Header=BB4_499 Depth=3
	s_or_b32 exec_lo, exec_lo, s78
	s_andn2_b32 s16, s72, exec_lo
	s_and_b32 s72, s76, exec_lo
	s_andn2_b32 s21, s21, exec_lo
	s_and_b32 s75, s75, exec_lo
	s_or_b32 s72, s16, s72
	s_or_b32 s21, s21, s75
.LBB4_498:                              ;   in Loop: Header=BB4_499 Depth=3
	s_or_b32 exec_lo, exec_lo, s74
	s_and_b32 s16, exec_lo, s21
	s_or_b32 s19, s16, s19
	s_andn2_b32 s16, s20, exec_lo
	s_and_b32 s20, s72, exec_lo
	s_or_b32 s20, s16, s20
	s_andn2_b32 exec_lo, exec_lo, s19
	s_cbranch_execz .LBB4_503
.LBB4_499:                              ;   Parent Loop BB4_47 Depth=1
                                        ;     Parent Loop BB4_491 Depth=2
                                        ; =>    This Inner Loop Header: Depth=3
	s_sleep 1
	s_waitcnt vmcnt(0) lgkmcnt(0)
	flat_load_dwordx2 v[48:49], v[32:33] glc dlc
	s_or_b32 s72, s72, exec_lo
	s_or_b32 s21, s21, exec_lo
                                        ; implicit-def: $vgpr10
	s_and_saveexec_b32 s74, vcc_lo
	s_cbranch_execz .LBB4_498
; %bb.500:                              ;   in Loop: Header=BB4_499 Depth=3
	s_cmpk_lt_i32 s73, 0x270f
	s_mov_b32 s75, -1
	s_cselect_b32 s77, -1, 0
	s_cmpk_gt_i32 s73, 0x270e
	s_cbranch_scc0 .LBB4_502
; %bb.501:                              ;   in Loop: Header=BB4_499 Depth=3
	s_trap 2
	ds_read_b64 v[10:11], v0
	s_andn2_b32 s73, s77, exec_lo
	s_mov_b32 s76, 0
	s_waitcnt vmcnt(0) lgkmcnt(0)
	s_waitcnt_vscnt null, 0x0
	flat_load_dword v10, v[10:11] glc dlc
	s_waitcnt vmcnt(0) lgkmcnt(0)
	buffer_gl1_inv
	buffer_gl0_inv
	v_cmp_eq_u32_e64 s16, 0, v10
	s_and_b32 s16, s16, exec_lo
	s_or_b32 s77, s73, s16
	s_mov_b32 s73, 0
	s_and_saveexec_b32 s78, s77
	s_cbranch_execz .LBB4_497
	s_branch .LBB4_496
.LBB4_502:                              ;   in Loop: Header=BB4_499 Depth=3
	s_add_i32 s73, s73, 1
	s_mov_b32 s76, -1
                                        ; implicit-def: $vgpr10
	s_and_saveexec_b32 s78, s77
	s_cbranch_execz .LBB4_497
	s_branch .LBB4_496
.LBB4_503:                              ;   in Loop: Header=BB4_491 Depth=2
	s_or_b32 exec_lo, exec_lo, s19
	s_xor_b32 s16, s20, -1
	s_and_saveexec_b32 s19, s16
	s_xor_b32 s16, exec_lo, s19
	s_cbranch_execz .LBB4_505
; %bb.504:                              ;   in Loop: Header=BB4_491 Depth=2
	v_or_b32_e32 v98, 64, v98
	s_waitcnt vmcnt(0) lgkmcnt(0)
	s_waitcnt_vscnt null, 0x0
	ds_write_b32 v0, v10
	s_trap 2
.LBB4_505:                              ;   in Loop: Header=BB4_491 Depth=2
	s_or_b32 exec_lo, exec_lo, s16
.LBB4_506:                              ;   in Loop: Header=BB4_491 Depth=2
	s_or_b32 exec_lo, exec_lo, s18
	v_and_b32_e32 v10, 0x108, v98
	;;#ASMSTART
	s_wakeup
	;;#ASMEND
	v_cmp_ne_u32_e32 vcc_lo, 0x108, v10
                                        ; implicit-def: $vgpr10_vgpr11
	s_and_saveexec_b32 s16, vcc_lo
	s_xor_b32 s16, exec_lo, s16
; %bb.507:                              ;   in Loop: Header=BB4_491 Depth=2
	v_and_b32_e32 v10, 7, v64
	v_mov_b32_e32 v11, v2
                                        ; implicit-def: $vgpr64_vgpr65
; %bb.508:                              ;   in Loop: Header=BB4_491 Depth=2
	s_andn2_saveexec_b32 s16, s16
	s_cbranch_execz .LBB4_510
; %bb.509:                              ;   in Loop: Header=BB4_491 Depth=2
	v_and_b32_e32 v10, 7, v64
	v_ashrrev_i32_e32 v69, 31, v68
	v_mov_b32_e32 v11, v2
	v_mad_u64_u32 v[12:13], null, v10, 24, v[6:7]
	flat_store_dwordx2 v[12:13], v[68:69] offset:8
.LBB4_510:                              ;   in Loop: Header=BB4_491 Depth=2
	s_or_b32 exec_lo, exec_lo, s16
	v_and_b32_e32 v12, 0x100, v98
	s_mov_b32 s16, -1
	v_cmp_ne_u32_e32 vcc_lo, 0, v12
                                        ; implicit-def: $vgpr12_vgpr13
	s_and_saveexec_b32 s18, vcc_lo
	s_cbranch_execz .LBB4_514
; %bb.511:                              ;   in Loop: Header=BB4_491 Depth=2
	v_mad_u64_u32 v[14:15], null, v10, 24, v[6:7]
	v_mov_b32_e32 v12, v15
	v_mad_u64_u32 v[12:13], null, v11, 24, v[12:13]
	v_mov_b32_e32 v15, v12
	flat_load_dword v12, v[14:15]
	s_waitcnt vmcnt(0) lgkmcnt(0)
	v_cmp_eq_u32_e64 s16, 1, v12
	v_cmp_ne_u32_e32 vcc_lo, 1, v12
                                        ; implicit-def: $vgpr12_vgpr13
	s_and_saveexec_b32 s19, s16
	s_cbranch_execz .LBB4_513
; %bb.512:                              ;   in Loop: Header=BB4_491 Depth=2
	flat_load_dword v12, v[14:15] offset:4 glc dlc
	s_waitcnt vmcnt(0) lgkmcnt(0)
	v_ashrrev_i32_e32 v13, 31, v12
.LBB4_513:                              ;   in Loop: Header=BB4_491 Depth=2
	s_or_b32 exec_lo, exec_lo, s19
	s_orn2_b32 s16, vcc_lo, exec_lo
.LBB4_514:                              ;   in Loop: Header=BB4_491 Depth=2
	s_or_b32 exec_lo, exec_lo, s18
	s_and_saveexec_b32 s18, s16
; %bb.515:                              ;   in Loop: Header=BB4_491 Depth=2
	v_mul_lo_u32 v11, v11, v99
	v_mul_lo_u32 v14, v10, v100
	v_mad_u64_u32 v[12:13], null, v10, v99, 0
	v_add3_u32 v13, v13, v14, v11
; %bb.516:                              ;   in Loop: Header=BB4_491 Depth=2
	s_or_b32 exec_lo, exec_lo, s18
	v_cmp_eq_u32_e32 vcc_lo, 0, v16
	v_and_b32_e32 v15, 0x2000, v98
	s_mov_b32 s16, exec_lo
	v_cndmask_b32_e32 v14, 0xd0, v114, vcc_lo
	v_add_co_u32 v10, vcc_lo, v34, v12
	v_add_co_ci_u32_e64 v11, null, v35, v13, vcc_lo
	v_add_nc_u32_e32 v12, v0, v14
	ds_write_b64 v12, v[10:11] offset:584
	v_cmpx_ne_u32_e32 0, v15
	s_cbranch_execz .LBB4_518
; %bb.517:                              ;   in Loop: Header=BB4_491 Depth=2
	ds_read_b64 v[10:11], v0 offset:872
	s_waitcnt lgkmcnt(0)
	v_add_co_u32 v10, vcc_lo, v10, 1
	v_add_co_ci_u32_e64 v11, null, 0, v11, vcc_lo
	ds_write_b64 v0, v[10:11] offset:872
.LBB4_518:                              ;   in Loop: Header=BB4_491 Depth=2
	s_or_b32 exec_lo, exec_lo, s16
	v_mov_b32_e32 v65, v9
	v_mov_b32_e32 v64, v8
.LBB4_519:                              ;   in Loop: Header=BB4_491 Depth=2
	s_or_b32 exec_lo, exec_lo, s17
	s_and_saveexec_b32 s16, s6
	s_cbranch_execz .LBB4_538
; %bb.520:                              ;   in Loop: Header=BB4_491 Depth=2
	s_and_saveexec_b32 s17, s29
	s_xor_b32 s17, exec_lo, s17
	s_cbranch_execz .LBB4_535
; %bb.521:                              ;   in Loop: Header=BB4_491 Depth=2
	s_and_saveexec_b32 s18, s11
	s_cbranch_execz .LBB4_534
; %bb.522:                              ;   in Loop: Header=BB4_491 Depth=2
	s_mov_b32 s20, exec_lo
	s_mov_b32 s19, exec_lo
	v_mbcnt_lo_u32_b32 v8, s20, 0
	s_waitcnt vmcnt(0) lgkmcnt(0)
	s_waitcnt_vscnt null, 0x0
	buffer_gl1_inv
	buffer_gl0_inv
	v_cmpx_eq_u32_e32 0, v8
	s_cbranch_execz .LBB4_524
; %bb.523:                              ;   in Loop: Header=BB4_491 Depth=2
	s_bcnt1_i32_b32 s20, s20
	v_mov_b32_e32 v9, v2
	v_mov_b32_e32 v8, s20
	ds_add_u64 v0, v[8:9]
	s_trap 2
.LBB4_524:                              ;   in Loop: Header=BB4_491 Depth=2
	s_or_b32 exec_lo, exec_lo, s19
	s_trap 2
	ds_read_b64 v[8:9], v0
	s_waitcnt lgkmcnt(0)
	buffer_gl0_inv
	v_add_co_u32 v38, vcc_lo, v38, v101
	v_add_co_ci_u32_e64 v39, null, 0, v39, vcc_lo
	s_mov_b32 s19, exec_lo
	v_cmpx_lt_u64_e64 v[8:9], v[38:39]
	s_cbranch_execz .LBB4_533
; %bb.525:                              ;   in Loop: Header=BB4_491 Depth=2
	s_mov_b32 s20, 0
	s_mov_b32 s73, 0
                                        ; implicit-def: $sgpr21
                                        ; implicit-def: $sgpr72
	s_inst_prefetch 0x1
	s_branch .LBB4_527
	.p2align	6
.LBB4_526:                              ;   in Loop: Header=BB4_527 Depth=3
	s_or_b32 exec_lo, exec_lo, s75
	s_and_b32 s74, exec_lo, s76
	s_or_b32 s20, s74, s20
	s_andn2_b32 s21, s21, exec_lo
	s_and_b32 s74, s72, exec_lo
	s_or_b32 s21, s21, s74
	s_andn2_b32 exec_lo, exec_lo, s20
	s_cbranch_execz .LBB4_531
.LBB4_527:                              ;   Parent Loop BB4_47 Depth=1
                                        ;     Parent Loop BB4_491 Depth=2
                                        ; =>    This Inner Loop Header: Depth=3
	s_add_i32 s73, s73, 1
	s_cmpk_lg_i32 s73, 0x2710
	s_cselect_b32 s74, -1, 0
	s_and_b32 vcc_lo, exec_lo, s74
	s_cbranch_vccz .LBB4_529
; %bb.528:                              ;   in Loop: Header=BB4_527 Depth=3
	s_mov_b32 s76, -1
	s_or_b32 s72, s72, exec_lo
	s_and_saveexec_b32 s75, s74
	s_cbranch_execz .LBB4_526
	s_branch .LBB4_530
	.p2align	6
.LBB4_529:                              ;   in Loop: Header=BB4_527 Depth=3
	s_trap 2
	ds_read_b64 v[8:9], v0
	s_andn2_b32 s74, s74, exec_lo
	s_mov_b32 s73, 0
	s_waitcnt lgkmcnt(0)
	flat_load_dword v8, v[8:9] glc dlc
	s_waitcnt vmcnt(0) lgkmcnt(0)
	buffer_gl1_inv
	buffer_gl0_inv
	v_cmp_eq_u32_e32 vcc_lo, 0, v8
	s_and_b32 s75, vcc_lo, exec_lo
	s_or_b32 s74, s74, s75
	s_mov_b32 s76, -1
	s_or_b32 s72, s72, exec_lo
	s_and_saveexec_b32 s75, s74
	s_cbranch_execz .LBB4_526
.LBB4_530:                              ;   in Loop: Header=BB4_527 Depth=3
	s_sleep 1
	s_trap 2
	ds_read_b64 v[8:9], v0
	s_waitcnt lgkmcnt(0)
	buffer_gl0_inv
	s_andn2_b32 s72, s72, exec_lo
	v_cmp_ge_u64_e32 vcc_lo, v[8:9], v[38:39]
	s_orn2_b32 s76, vcc_lo, exec_lo
	s_branch .LBB4_526
.LBB4_531:                              ;   in Loop: Header=BB4_491 Depth=2
	s_inst_prefetch 0x2
	s_or_b32 exec_lo, exec_lo, s20
	s_and_saveexec_b32 s20, s21
	s_xor_b32 s20, exec_lo, s20
	s_cbranch_execz .LBB4_533
; %bb.532:                              ;   in Loop: Header=BB4_491 Depth=2
	ds_write_b32 v0, v113
	s_trap 2
.LBB4_533:                              ;   in Loop: Header=BB4_491 Depth=2
	s_or_b32 exec_lo, exec_lo, s19
	;;#ASMSTART
	s_wakeup
	;;#ASMEND
.LBB4_534:                              ;   in Loop: Header=BB4_491 Depth=2
	s_or_b32 exec_lo, exec_lo, s18
.LBB4_535:                              ;   in Loop: Header=BB4_491 Depth=2
	s_andn2_saveexec_b32 s17, s17
	s_cbranch_execz .LBB4_537
; %bb.536:                              ;   in Loop: Header=BB4_491 Depth=2
	s_waitcnt vmcnt(0) lgkmcnt(0)
	s_waitcnt_vscnt null, 0x0
	buffer_gl1_inv
	buffer_gl0_inv
	s_barrier
.LBB4_537:                              ;   in Loop: Header=BB4_491 Depth=2
	s_or_b32 exec_lo, exec_lo, s17
.LBB4_538:                              ;   in Loop: Header=BB4_491 Depth=2
	s_or_b32 exec_lo, exec_lo, s16
	s_trap 2
	ds_read_b32 v8, v0
	v_and_b32_e32 v9, 0x4000, v98
	s_xor_b32 s16, s5, -1
	v_cmp_ne_u32_e32 vcc_lo, 0, v9
	s_and_b32 s17, s16, vcc_lo
	s_and_saveexec_b32 s16, s17
	s_cbranch_execz .LBB4_557
; %bb.539:                              ;   in Loop: Header=BB4_491 Depth=2
	s_and_saveexec_b32 s17, s29
	s_xor_b32 s17, exec_lo, s17
	s_cbranch_execz .LBB4_554
; %bb.540:                              ;   in Loop: Header=BB4_491 Depth=2
	s_and_saveexec_b32 s18, s11
	s_cbranch_execz .LBB4_553
; %bb.541:                              ;   in Loop: Header=BB4_491 Depth=2
	s_mov_b32 s20, exec_lo
	s_mov_b32 s19, exec_lo
	v_mbcnt_lo_u32_b32 v9, s20, 0
	s_waitcnt vmcnt(0) lgkmcnt(0)
	s_waitcnt_vscnt null, 0x0
	buffer_gl1_inv
	buffer_gl0_inv
	v_cmpx_eq_u32_e32 0, v9
	s_cbranch_execz .LBB4_543
; %bb.542:                              ;   in Loop: Header=BB4_491 Depth=2
	s_bcnt1_i32_b32 s20, s20
	v_mov_b32_e32 v10, v2
	v_mov_b32_e32 v9, s20
	ds_add_u64 v0, v[9:10]
	s_trap 2
.LBB4_543:                              ;   in Loop: Header=BB4_491 Depth=2
	s_or_b32 exec_lo, exec_lo, s19
	s_trap 2
	ds_read_b64 v[9:10], v0
	s_waitcnt lgkmcnt(0)
	buffer_gl0_inv
	v_add_co_u32 v38, vcc_lo, v38, v101
	v_add_co_ci_u32_e64 v39, null, 0, v39, vcc_lo
	s_mov_b32 s19, exec_lo
	v_cmpx_lt_u64_e64 v[9:10], v[38:39]
	s_cbranch_execz .LBB4_552
; %bb.544:                              ;   in Loop: Header=BB4_491 Depth=2
	s_mov_b32 s20, 0
	s_mov_b32 s73, 0
                                        ; implicit-def: $sgpr21
                                        ; implicit-def: $sgpr72
	s_inst_prefetch 0x1
	s_branch .LBB4_546
	.p2align	6
.LBB4_545:                              ;   in Loop: Header=BB4_546 Depth=3
	s_or_b32 exec_lo, exec_lo, s75
	s_and_b32 s74, exec_lo, s76
	s_or_b32 s20, s74, s20
	s_andn2_b32 s21, s21, exec_lo
	s_and_b32 s74, s72, exec_lo
	s_or_b32 s21, s21, s74
	s_andn2_b32 exec_lo, exec_lo, s20
	s_cbranch_execz .LBB4_550
.LBB4_546:                              ;   Parent Loop BB4_47 Depth=1
                                        ;     Parent Loop BB4_491 Depth=2
                                        ; =>    This Inner Loop Header: Depth=3
	s_add_i32 s73, s73, 1
	s_cmpk_lg_i32 s73, 0x2710
	s_cselect_b32 s74, -1, 0
	s_and_b32 vcc_lo, exec_lo, s74
	s_cbranch_vccz .LBB4_548
; %bb.547:                              ;   in Loop: Header=BB4_546 Depth=3
	s_mov_b32 s76, -1
	s_or_b32 s72, s72, exec_lo
	s_and_saveexec_b32 s75, s74
	s_cbranch_execz .LBB4_545
	s_branch .LBB4_549
	.p2align	6
.LBB4_548:                              ;   in Loop: Header=BB4_546 Depth=3
	s_trap 2
	ds_read_b64 v[9:10], v0
	s_andn2_b32 s74, s74, exec_lo
	s_mov_b32 s73, 0
	s_waitcnt lgkmcnt(0)
	flat_load_dword v9, v[9:10] glc dlc
	s_waitcnt vmcnt(0) lgkmcnt(0)
	buffer_gl1_inv
	buffer_gl0_inv
	v_cmp_eq_u32_e32 vcc_lo, 0, v9
	s_and_b32 s75, vcc_lo, exec_lo
	s_or_b32 s74, s74, s75
	s_mov_b32 s76, -1
	s_or_b32 s72, s72, exec_lo
	s_and_saveexec_b32 s75, s74
	s_cbranch_execz .LBB4_545
.LBB4_549:                              ;   in Loop: Header=BB4_546 Depth=3
	s_sleep 1
	s_trap 2
	ds_read_b64 v[9:10], v0
	s_waitcnt lgkmcnt(0)
	buffer_gl0_inv
	s_andn2_b32 s72, s72, exec_lo
	v_cmp_ge_u64_e32 vcc_lo, v[9:10], v[38:39]
	s_orn2_b32 s76, vcc_lo, exec_lo
	s_branch .LBB4_545
.LBB4_550:                              ;   in Loop: Header=BB4_491 Depth=2
	s_inst_prefetch 0x2
	s_or_b32 exec_lo, exec_lo, s20
	s_and_saveexec_b32 s20, s21
	s_xor_b32 s20, exec_lo, s20
	s_cbranch_execz .LBB4_552
; %bb.551:                              ;   in Loop: Header=BB4_491 Depth=2
	ds_write_b32 v0, v113
	s_trap 2
.LBB4_552:                              ;   in Loop: Header=BB4_491 Depth=2
	s_or_b32 exec_lo, exec_lo, s19
	;;#ASMSTART
	s_wakeup
	;;#ASMEND
.LBB4_553:                              ;   in Loop: Header=BB4_491 Depth=2
	s_or_b32 exec_lo, exec_lo, s18
.LBB4_554:                              ;   in Loop: Header=BB4_491 Depth=2
	s_andn2_saveexec_b32 s17, s17
	s_cbranch_execz .LBB4_556
; %bb.555:                              ;   in Loop: Header=BB4_491 Depth=2
	s_waitcnt vmcnt(0) lgkmcnt(0)
	s_waitcnt_vscnt null, 0x0
	buffer_gl1_inv
	buffer_gl0_inv
	s_barrier
.LBB4_556:                              ;   in Loop: Header=BB4_491 Depth=2
	s_or_b32 exec_lo, exec_lo, s17
.LBB4_557:                              ;   in Loop: Header=BB4_491 Depth=2
	s_or_b32 exec_lo, exec_lo, s16
	s_trap 2
	ds_read_b64 v[69:70], v0
	s_waitcnt lgkmcnt(0)
	v_cmp_eq_u64_e32 vcc_lo, 0, v[69:70]
	s_cbranch_vccnz .LBB4_566
; %bb.558:                              ;   in Loop: Header=BB4_491 Depth=2
	s_trap 2
	ds_read_b64 v[80:81], v0
	s_waitcnt lgkmcnt(0)
	v_cmp_eq_u64_e32 vcc_lo, 0, v[80:81]
	s_cbranch_vccnz .LBB4_566
; %bb.559:                              ;   in Loop: Header=BB4_491 Depth=2
	s_trap 2
	ds_read_b64 v[12:13], v0
	v_cmp_eq_u32_e64 s16, 0, v8
	v_cndmask_b32_e64 v59, 0, v68, s16
	s_mov_b32 s16, -1
	s_waitcnt lgkmcnt(0)
	v_cmp_ne_u64_e32 vcc_lo, 0, v[12:13]
	v_readfirstlane_b32 s72, v12
	s_cbranch_vccz .LBB4_595
; %bb.560:                              ;   in Loop: Header=BB4_491 Depth=2
	s_and_saveexec_b32 s17, s14
	s_cbranch_execz .LBB4_562
; %bb.561:                              ;   in Loop: Header=BB4_491 Depth=2
	ds_read_b32 v8, v0 offset:720
	s_waitcnt lgkmcnt(0)
	v_and_b32_e32 v8, 15, v8
	v_cmp_eq_u32_e32 vcc_lo, 0, v8
	s_orn2_b32 s16, vcc_lo, exec_lo
.LBB4_562:                              ;   in Loop: Header=BB4_491 Depth=2
	s_or_b32 exec_lo, exec_lo, s17
	s_and_saveexec_b32 s17, s14
	s_cbranch_execz .LBB4_564
; %bb.563:                              ;   in Loop: Header=BB4_491 Depth=2
	ds_read_b32 v8, v0 offset:784
	s_waitcnt lgkmcnt(0)
	v_and_b32_e32 v8, 15, v8
	v_cmp_eq_u32_e32 vcc_lo, 0, v8
	s_and_b32 s18, s16, vcc_lo
	s_andn2_b32 s16, s16, exec_lo
	s_and_b32 s18, s18, exec_lo
	s_or_b32 s16, s16, s18
.LBB4_564:                              ;   in Loop: Header=BB4_491 Depth=2
	s_or_b32 exec_lo, exec_lo, s17
	s_xor_b32 s16, s16, -1
	v_mov_b32_e32 v16, 0
	v_cndmask_b32_e64 v8, 0, 1, s16
	v_mov_b32_e32 v17, v59
	v_mov_b32_e32 v18, v0
	s_mov_b32 s16, -1
	v_cmp_ne_u32_e32 vcc_lo, 0, v8
	s_cbranch_vccz .LBB4_571
; %bb.565:                              ;   in Loop: Header=BB4_491 Depth=2
	s_and_saveexec_b32 s20, s16
	s_cbranch_execnz .LBB4_584
	s_branch .LBB4_594
.LBB4_566:                              ;   in Loop: Header=BB4_491 Depth=2
	s_mov_b32 s16, 0
	s_and_saveexec_b32 s17, s6
	s_cbranch_execnz .LBB4_623
.LBB4_567:                              ;   in Loop: Header=BB4_491 Depth=2
	s_or_b32 exec_lo, exec_lo, s17
                                        ; implicit-def: $vgpr8
	s_and_saveexec_b32 s17, s15
	s_xor_b32 s17, exec_lo, s17
	s_cbranch_execz .LBB4_641
.LBB4_568:                              ;   in Loop: Header=BB4_491 Depth=2
	v_and_b32_e32 v8, 16, v98
	v_cmp_ne_u32_e32 vcc_lo, 0, v8
	v_and_b32_e32 v8, 16, v98
	s_and_b32 s18, vcc_lo, s16
	s_and_saveexec_b32 s16, s18
	s_cbranch_execz .LBB4_570
; %bb.569:                              ;   in Loop: Header=BB4_491 Depth=2
	v_mov_b32_e32 v8, 1
	s_waitcnt vmcnt(0) lgkmcnt(0)
	s_waitcnt_vscnt null, 0x0
	buffer_gl1_inv
	buffer_gl0_inv
.LBB4_570:                              ;   in Loop: Header=BB4_491 Depth=2
	s_or_b32 exec_lo, exec_lo, s16
	s_andn2_saveexec_b32 s16, s17
	s_cbranch_execz .LBB4_660
	s_branch .LBB4_642
.LBB4_571:                              ;   in Loop: Header=BB4_491 Depth=2
	v_ashrrev_i32_e32 v8, 31, v59
	s_mov_b32 s18, exec_lo
	v_lshrrev_b32_e32 v8, 22, v8
	v_add_nc_u32_e32 v8, v59, v8
	v_ashrrev_i32_e32 v23, 10, v8
	v_sub_nc_u32_e32 v22, v23, v103
	v_cmpx_lt_i32_e32 0, v22
	s_cbranch_execz .LBB4_575
; %bb.572:                              ;   in Loop: Header=BB4_491 Depth=2
	s_trap 2
	ds_read_b64 v[8:9], v0
	v_add_co_u32 v14, vcc_lo, v80, v40
	v_add_co_ci_u32_e64 v15, null, 0, v81, vcc_lo
	v_add_co_u32 v16, vcc_lo, v12, v40
	v_add_co_ci_u32_e64 v17, null, 0, v13, vcc_lo
	;; [unrolled: 2-line block ×3, first 2 shown]
	s_and_b32 s20, s72, 0xff
	s_mov_b32 s19, 0
	s_mul_i32 s20, s20, 0x1010101
	s_waitcnt lgkmcnt(0)
	v_add_co_u32 v20, vcc_lo, v8, v40
	v_add_co_ci_u32_e64 v21, null, 0, v9, vcc_lo
.LBB4_573:                              ;   Parent Loop BB4_47 Depth=1
                                        ;     Parent Loop BB4_491 Depth=2
                                        ; =>    This Inner Loop Header: Depth=3
	global_load_dwordx4 v[8:11], v[18:19], off slc
	global_load_dwordx4 v[82:85], v[20:21], off slc
	v_sub_nc_u32_e32 v22, v22, v101
	s_waitcnt vmcnt(1)
	v_xor_b32_e32 v86, s20, v8
	s_waitcnt vmcnt(0)
	v_xor3_b32 v87, s20, -1, v82
	v_xnor_b32_e32 v62, s20, v83
	v_xnor_b32_e32 v73, s20, v84
	;; [unrolled: 1-line block ×3, first 2 shown]
	v_and_b32_e32 v60, 0xff00ff, v86
	v_and_b32_e32 v61, 0xff00ff, v87
	v_lshrrev_b32_e32 v86, 8, v86
	v_lshrrev_b32_e32 v87, 8, v87
	v_and_b32_e32 v72, 0xff00ff, v62
	v_and_b32_e32 v75, 0xff00ff, v73
	v_add3_u32 v60, v60, v61, 0x1010101
	v_xor_b32_e32 v61, s20, v9
	v_and_b32_e32 v86, 0xff00ff, v86
	v_and_b32_e32 v87, 0xff00ff, v87
	;; [unrolled: 1-line block ×3, first 2 shown]
	v_lshrrev_b32_e32 v60, 8, v60
	v_and_b32_e32 v63, 0xff00ff, v61
	v_add3_u32 v86, v86, v87, 0x1010101
	v_lshrrev_b32_e32 v87, 8, v61
	v_lshrrev_b32_e32 v61, 8, v62
	v_add3_u32 v63, v63, v72, 0x1010101
	v_xor_b32_e32 v72, s20, v10
	v_and_b32_e32 v60, 0x10001, v60
	v_and_b32_e32 v87, 0xff00ff, v87
	;; [unrolled: 1-line block ×3, first 2 shown]
	v_lshrrev_b32_e32 v62, 8, v73
	v_and_b32_e32 v74, 0xff00ff, v72
	v_and_or_b32 v86, 0x1000100, v86, v60
	v_lshrrev_b32_e32 v60, 8, v63
	v_add3_u32 v87, v87, v61, 0x1010101
	v_lshrrev_b32_e32 v61, 8, v72
	v_add3_u32 v74, v74, v75, 0x1010101
	v_xor_b32_e32 v75, s20, v11
	v_and_b32_e32 v60, 0x10001, v60
	v_and_b32_e32 v62, 0xff00ff, v62
	;; [unrolled: 1-line block ×3, first 2 shown]
	v_lshrrev_b32_e32 v72, 8, v76
	v_and_b32_e32 v77, 0xff00ff, v75
	v_and_or_b32 v87, 0x1000100, v87, v60
	v_lshrrev_b32_e32 v60, 8, v74
	v_add3_u32 v61, v61, v62, 0x1010101
	v_lshrrev_b32_e32 v62, 8, v75
	v_add3_u32 v77, v77, v78, 0x1010101
	v_mul_lo_u32 v86, 0xff, v86
	v_and_b32_e32 v60, 0x10001, v60
	v_and_b32_e32 v72, 0xff00ff, v72
	;; [unrolled: 1-line block ×3, first 2 shown]
	v_mul_lo_u32 v87, 0xff, v87
	v_and_or_b32 v60, 0x1000100, v61, v60
	v_lshrrev_b32_e32 v61, 8, v77
	v_add3_u32 v62, v62, v72, 0x1010101
	v_bfi_b32 v8, v86, v8, v82
	v_mul_lo_u32 v82, 0xff, v60
	v_and_b32_e32 v61, 0x10001, v61
	v_bfi_b32 v9, v87, v9, v83
	v_and_or_b32 v61, 0x1000100, v62, v61
	v_bfi_b32 v10, v82, v10, v84
	v_mul_lo_u32 v82, 0xff, v61
	global_load_dwordx4 v[60:63], v[20:21], off offset:512 slc
	v_add_co_u32 v20, s16, v20, v118
	v_add_co_ci_u32_e64 v21, null, 0, v21, s16
	v_bfi_b32 v11, v82, v11, v85
	global_load_dwordx4 v[82:85], v[18:19], off offset:512 slc
	v_add_co_u32 v18, vcc_lo, v18, v118
	v_add_co_ci_u32_e64 v19, null, 0, v19, vcc_lo
	v_cmp_gt_i32_e32 vcc_lo, 1, v22
	s_or_b32 s19, vcc_lo, s19
	s_waitcnt vmcnt(1)
	v_xnor_b32_e32 v87, s20, v60
	v_xnor_b32_e32 v74, s20, v61
	;; [unrolled: 1-line block ×4, first 2 shown]
	v_and_b32_e32 v73, 0xff00ff, v87
	v_lshrrev_b32_e32 v87, 8, v87
	v_and_b32_e32 v76, 0xff00ff, v74
	s_waitcnt vmcnt(0)
	v_xor_b32_e32 v86, s20, v82
	v_and_b32_e32 v79, 0xff00ff, v77
	v_and_b32_e32 v90, 0xff00ff, v88
	;; [unrolled: 1-line block ×4, first 2 shown]
	v_lshrrev_b32_e32 v86, 8, v86
	v_add3_u32 v72, v72, v73, 0x1010101
	v_xor_b32_e32 v73, s20, v83
	v_and_b32_e32 v86, 0xff00ff, v86
	v_lshrrev_b32_e32 v72, 8, v72
	v_and_b32_e32 v75, 0xff00ff, v73
	v_add3_u32 v86, v86, v87, 0x1010101
	v_lshrrev_b32_e32 v87, 8, v73
	v_lshrrev_b32_e32 v73, 8, v74
	v_and_b32_e32 v72, 0x10001, v72
	v_add3_u32 v75, v75, v76, 0x1010101
	v_xor_b32_e32 v76, s20, v84
	v_and_b32_e32 v87, 0xff00ff, v87
	v_and_b32_e32 v73, 0xff00ff, v73
	v_and_or_b32 v86, 0x1000100, v86, v72
	v_lshrrev_b32_e32 v72, 8, v75
	v_and_b32_e32 v78, 0xff00ff, v76
	v_lshrrev_b32_e32 v74, 8, v77
	v_add3_u32 v87, v87, v73, 0x1010101
	v_lshrrev_b32_e32 v73, 8, v76
	v_and_b32_e32 v72, 0x10001, v72
	v_add3_u32 v78, v78, v79, 0x1010101
	v_xor_b32_e32 v79, s20, v85
	v_and_b32_e32 v74, 0xff00ff, v74
	v_and_b32_e32 v73, 0xff00ff, v73
	v_and_or_b32 v87, 0x1000100, v87, v72
	v_lshrrev_b32_e32 v72, 8, v78
	v_and_b32_e32 v89, 0xff00ff, v79
	v_lshrrev_b32_e32 v76, 8, v88
	v_add3_u32 v73, v73, v74, 0x1010101
	v_lshrrev_b32_e32 v74, 8, v79
	v_and_b32_e32 v72, 0x10001, v72
	v_add3_u32 v89, v89, v90, 0x1010101
	v_mul_lo_u32 v86, 0xff, v86
	v_and_b32_e32 v76, 0xff00ff, v76
	v_and_b32_e32 v74, 0xff00ff, v74
	v_and_or_b32 v72, 0x1000100, v73, v72
	v_lshrrev_b32_e32 v73, 8, v89
	v_mul_lo_u32 v87, 0xff, v87
	v_add3_u32 v74, v74, v76, 0x1010101
	v_bfi_b32 v82, v86, v82, v60
	v_and_b32_e32 v73, 0x10001, v73
	v_mul_lo_u32 v86, 0xff, v72
	v_bfi_b32 v83, v87, v83, v61
	v_and_or_b32 v73, 0x1000100, v74, v73
	v_bfi_b32 v84, v86, v84, v62
	v_mul_lo_u32 v86, 0xff, v73
	v_bfi_b32 v85, v86, v85, v63
	global_store_dwordx4 v[14:15], v[8:11], off glc slc
	global_store_dwordx4 v[14:15], v[82:85], off offset:512 glc slc
	global_store_dwordx4 v[16:17], v[8:11], off glc slc
	global_store_dwordx4 v[16:17], v[82:85], off offset:512 glc slc
	v_add_co_u32 v14, s16, v14, v118
	v_add_co_u32 v16, s17, v16, v118
	v_add_co_ci_u32_e64 v15, null, 0, v15, s16
	v_add_co_ci_u32_e64 v17, null, 0, v17, s17
	s_andn2_b32 exec_lo, exec_lo, s19
	s_cbranch_execnz .LBB4_573
; %bb.574:                              ;   in Loop: Header=BB4_491 Depth=2
	s_or_b32 exec_lo, exec_lo, s19
.LBB4_575:                              ;   in Loop: Header=BB4_491 Depth=2
	s_or_b32 exec_lo, exec_lo, s18
	v_lshlrev_b32_e32 v19, 10, v23
	v_mov_b32_e32 v16, 0
	s_mov_b32 s16, 0
	s_mov_b32 s19, exec_lo
                                        ; implicit-def: $vgpr17
                                        ; implicit-def: $vgpr18
	v_cmpx_ne_u32_e64 v59, v19
	s_cbranch_execz .LBB4_583
; %bb.576:                              ;   in Loop: Header=BB4_491 Depth=2
	v_lshlrev_b32_e32 v8, 5, v22
	v_sub_nc_u32_e32 v10, v59, v19
	s_mov_b32 s73, exec_lo
	v_sub_nc_u32_e32 v8, v102, v8
	v_ashrrev_i32_e32 v11, 31, v10
	v_ashrrev_i32_e32 v9, 31, v8
	v_lshrrev_b32_e32 v11, 23, v11
	v_lshrrev_b32_e32 v9, 27, v9
	v_add_nc_u32_e32 v11, v10, v11
	v_add_nc_u32_e32 v9, v8, v9
	v_and_b32_e32 v20, 0xfffffe00, v11
	v_ashrrev_i32_e32 v11, 9, v11
	v_and_b32_e32 v14, 0xffffffe0, v9
	v_sub_nc_u32_e32 v21, v10, v20
	v_ashrrev_i32_e32 v9, 5, v9
	v_sub_nc_u32_e32 v18, v8, v14
	v_cmp_lt_i32_e64 s16, 15, v21
	v_lshlrev_b32_e32 v8, 4, v18
	v_add_co_ci_u32_e64 v11, null, 0, v11, s16
	v_lshl_add_u32 v8, v9, 9, v8
	v_sub_nc_u32_e32 v22, v11, v9
	v_sub_nc_u32_e32 v23, v10, v8
	v_cmpx_lt_i32_e32 15, v23
	s_cbranch_execz .LBB4_582
; %bb.577:                              ;   in Loop: Header=BB4_491 Depth=2
	s_trap 2
	ds_read_b64 v[9:10], v0
	v_add_nc_u32_e32 v8, v8, v19
	s_and_b32 s75, s72, 0xff
	s_mov_b32 s74, 0
	s_mul_i32 s75, s75, 0x1010101
	v_ashrrev_i32_e32 v11, 31, v8
	v_add_co_u32 v82, vcc_lo, v8, v80
	v_add_co_ci_u32_e64 v83, null, v11, v81, vcc_lo
	v_add_co_u32 v84, vcc_lo, v8, v12
	v_add_co_ci_u32_e64 v85, null, v11, v13, vcc_lo
	;; [unrolled: 2-line block ×3, first 2 shown]
	s_waitcnt lgkmcnt(0)
	v_add_co_u32 v16, vcc_lo, v9, v8
	v_add_co_ci_u32_e64 v17, null, v10, v11, vcc_lo
.LBB4_578:                              ;   Parent Loop BB4_47 Depth=1
                                        ;     Parent Loop BB4_491 Depth=2
                                        ; =>    This Loop Header: Depth=3
                                        ;         Child Loop BB4_579 Depth 4
	global_load_dwordx4 v[8:11], v[16:17], off slc
	global_load_dwordx4 v[60:63], v[14:15], off slc
	s_mov_b64 s[20:21], 0
	s_mov_b32 s76, -1
	s_waitcnt vmcnt(1)
	v_xor3_b32 v86, s75, -1, v8
	v_xnor_b32_e32 v87, s75, v9
	v_xnor_b32_e32 v72, s75, v10
	;; [unrolled: 1-line block ×3, first 2 shown]
	s_waitcnt vmcnt(0)
	v_xor_b32_e32 v74, s75, v60
	v_xor_b32_e32 v75, s75, v61
	;; [unrolled: 1-line block ×4, first 2 shown]
	v_and_b32_e32 v78, 0xff00ff, v86
	v_lshrrev_b32_e32 v86, 8, v86
	v_and_b32_e32 v79, 0xff00ff, v87
	v_lshrrev_b32_e32 v87, 8, v87
	v_and_b32_e32 v88, 0xff00ff, v72
	v_lshrrev_b32_e32 v72, 8, v72
	v_and_b32_e32 v89, 0xff00ff, v73
	v_and_b32_e32 v90, 0xff00ff, v74
	v_lshrrev_b32_e32 v74, 8, v74
	v_and_b32_e32 v91, 0xff00ff, v75
	v_lshrrev_b32_e32 v75, 8, v75
	;; [unrolled: 2-line block ×4, first 2 shown]
	v_lshrrev_b32_e32 v77, 8, v77
	v_and_b32_e32 v86, 0xff00ff, v86
	v_and_b32_e32 v87, 0xff00ff, v87
	;; [unrolled: 1-line block ×3, first 2 shown]
	v_add3_u32 v78, v90, v78, 0x1010101
	v_and_b32_e32 v74, 0xff00ff, v74
	v_add3_u32 v79, v91, v79, 0x1010101
	v_and_b32_e32 v75, 0xff00ff, v75
	;; [unrolled: 2-line block ×4, first 2 shown]
	v_and_b32_e32 v77, 0xff00ff, v77
	v_add3_u32 v86, v74, v86, 0x1010101
	v_lshrrev_b32_e32 v74, 8, v78
	v_add3_u32 v87, v75, v87, 0x1010101
	v_lshrrev_b32_e32 v75, 8, v79
	;; [unrolled: 2-line block ×3, first 2 shown]
	v_lshrrev_b32_e32 v78, 8, v89
	v_add3_u32 v73, v77, v73, 0x1010101
	v_and_b32_e32 v74, 0x10001, v74
	v_and_b32_e32 v75, 0x10001, v75
	;; [unrolled: 1-line block ×4, first 2 shown]
	v_and_or_b32 v86, 0x1000100, v86, v74
	v_and_or_b32 v87, 0x1000100, v87, v75
	;; [unrolled: 1-line block ×4, first 2 shown]
	v_mul_lo_u32 v86, 0xff, v86
	v_mul_lo_u32 v87, 0xff, v87
	;; [unrolled: 1-line block ×4, first 2 shown]
	v_bfi_b32 v8, v86, v60, v8
	v_bfi_b32 v9, v87, v61, v9
	;; [unrolled: 1-line block ×4, first 2 shown]
	.p2align	6
.LBB4_579:                              ;   Parent Loop BB4_47 Depth=1
                                        ;     Parent Loop BB4_491 Depth=2
                                        ;       Parent Loop BB4_578 Depth=3
                                        ; =>      This Inner Loop Header: Depth=4
	s_cmp_eq_u32 s20, 1
	s_cselect_b32 vcc_lo, -1, 0
	s_cmp_eq_u32 s20, 0
	v_cndmask_b32_e32 v86, v82, v84, vcc_lo
	v_cndmask_b32_e32 v87, v83, v85, vcc_lo
	s_mov_b64 s[20:21], 1
	v_add_co_u32 v60, s17, 0x200, v86
	v_add_co_ci_u32_e64 v61, null, 0, v87, s17
	s_cselect_b32 s17, -1, 0
	v_cndmask_b32_e32 v84, v84, v60, vcc_lo
	v_cndmask_b32_e64 v82, v82, v60, s17
	v_cndmask_b32_e32 v85, v85, v61, vcc_lo
	v_cndmask_b32_e64 v83, v83, v61, s17
	s_and_b32 s18, exec_lo, s76
	s_mov_b32 s76, 0
	s_mov_b32 vcc_lo, s18
	global_store_dwordx4 v[86:87], v[8:11], off glc slc
	s_cbranch_vccnz .LBB4_579
; %bb.580:                              ;   in Loop: Header=BB4_578 Depth=3
	v_add_co_u32 v14, vcc_lo, v14, v47
	v_sub_nc_u32_e32 v23, v23, v117
	v_add_co_ci_u32_e64 v15, null, v15, v56, vcc_lo
	v_add_co_u32 v16, vcc_lo, v16, v47
	v_add_co_ci_u32_e64 v17, null, v17, v56, vcc_lo
	v_add_co_u32 v82, vcc_lo, v82, v41
	v_add_co_ci_u32_e64 v83, null, v83, v44, vcc_lo
	v_cmp_gt_i32_e32 vcc_lo, 16, v23
	v_add_co_u32 v84, s17, v84, v41
	v_add_co_ci_u32_e64 v85, null, v85, v44, s17
	v_sub_nc_u32_e32 v22, v22, v101
	s_or_b32 s74, vcc_lo, s74
	s_andn2_b32 exec_lo, exec_lo, s74
	s_cbranch_execnz .LBB4_578
; %bb.581:                              ;   in Loop: Header=BB4_491 Depth=2
	s_or_b32 exec_lo, exec_lo, s74
.LBB4_582:                              ;   in Loop: Header=BB4_491 Depth=2
	s_or_b32 exec_lo, exec_lo, s73
	v_and_b32_e32 v8, 15, v59
	v_cmp_lt_i32_e32 vcc_lo, 0, v22
	v_sub_nc_u32_e32 v9, v21, v8
	v_cndmask_b32_e32 v10, 0, v101, vcc_lo
	v_cndmask_b32_e64 v17, v21, v8, s16
	v_cndmask_b32_e64 v8, 0, v9, s16
	v_sub_nc_u32_e32 v9, v10, v22
	v_cmp_ne_u32_e32 vcc_lo, 0, v17
	v_add3_u32 v16, v20, v19, v8
	v_lshl_add_u32 v18, v9, 5, v18
	s_and_b32 s16, vcc_lo, exec_lo
.LBB4_583:                              ;   in Loop: Header=BB4_491 Depth=2
	s_or_b32 exec_lo, exec_lo, s19
	s_and_saveexec_b32 s20, s16
	s_cbranch_execz .LBB4_594
.LBB4_584:                              ;   in Loop: Header=BB4_491 Depth=2
	v_ashrrev_i32_e32 v8, 31, v18
	v_ashrrev_i32_e32 v9, 31, v17
	s_mov_b32 s16, exec_lo
	v_lshrrev_b32_e32 v8, 27, v8
	v_lshrrev_b32_e32 v9, 23, v9
	v_add_nc_u32_e32 v8, v18, v8
	v_add_nc_u32_e32 v9, v17, v9
	v_ashrrev_i32_e32 v19, 5, v8
	v_ashrrev_i32_e32 v21, 9, v9
	v_sub_nc_u32_e32 v20, v21, v19
	v_cmpx_lt_i32_e32 0, v20
	s_cbranch_execz .LBB4_588
; %bb.585:                              ;   in Loop: Header=BB4_491 Depth=2
	v_and_b32_e32 v8, 0xffffffe0, v8
	s_trap 2
	ds_read_b64 v[14:15], v0
	v_lshlrev_b32_e32 v9, 9, v19
	s_and_b32 s18, s72, 0xff
	v_sub_nc_u32_e32 v8, v18, v8
	s_mov_b32 s17, 0
	v_add3_u32 v22, v16, v8, v9
	v_ashrrev_i32_e32 v23, 31, v22
	v_add_co_u32 v8, vcc_lo, v22, v80
	v_add_co_ci_u32_e64 v9, null, v23, v81, vcc_lo
	v_add_co_u32 v10, vcc_lo, v22, v12
	v_add_co_ci_u32_e64 v11, null, v23, v13, vcc_lo
	;; [unrolled: 2-line block ×3, first 2 shown]
	s_waitcnt lgkmcnt(0)
	v_add_co_u32 v14, vcc_lo, v14, v22
	v_add_co_ci_u32_e64 v15, null, v15, v23, vcc_lo
.LBB4_586:                              ;   Parent Loop BB4_47 Depth=1
                                        ;     Parent Loop BB4_491 Depth=2
                                        ; =>    This Inner Loop Header: Depth=3
	s_clause 0xf
	flat_load_ubyte v22, v[12:13] slc
	flat_load_ubyte v23, v[12:13] offset:32 slc
	flat_load_ubyte v82, v[12:13] offset:64 slc
	;; [unrolled: 1-line block ×15, first 2 shown]
	s_clause 0xf
	flat_load_ubyte v76, v[14:15] slc
	flat_load_ubyte v77, v[14:15] offset:32 slc
	flat_load_ubyte v78, v[14:15] offset:64 slc
	;; [unrolled: 1-line block ×15, first 2 shown]
	v_sub_nc_u32_e32 v20, v20, v101
	s_waitcnt vmcnt(31) lgkmcnt(31)
	v_xor_b32_e32 v108, s18, v22
	s_waitcnt vmcnt(15) lgkmcnt(15)
	v_xor_b32_e32 v109, s18, v76
	v_cmp_lt_u16_e32 vcc_lo, v108, v109
	s_waitcnt vmcnt(14) lgkmcnt(14)
	v_xor_b32_e32 v108, s18, v77
	v_cndmask_b32_e32 v22, v76, v22, vcc_lo
	v_xor_b32_e32 v76, s18, v23
	v_cmp_lt_u16_e32 vcc_lo, v76, v108
	v_xor_b32_e32 v76, s18, v82
	v_cndmask_b32_e32 v23, v77, v23, vcc_lo
	s_waitcnt vmcnt(13) lgkmcnt(13)
	v_xor_b32_e32 v77, s18, v78
	v_cmp_lt_u16_e32 vcc_lo, v76, v77
	v_xor_b32_e32 v76, s18, v83
	s_waitcnt vmcnt(12) lgkmcnt(12)
	v_xor_b32_e32 v77, s18, v79
	v_cndmask_b32_e32 v82, v78, v82, vcc_lo
	v_cmp_lt_u16_e32 vcc_lo, v76, v77
	v_xor_b32_e32 v76, s18, v84
	s_waitcnt vmcnt(11) lgkmcnt(11)
	v_xor_b32_e32 v77, s18, v88
	v_cndmask_b32_e32 v83, v79, v83, vcc_lo
	;; [unrolled: 5-line block ×13, first 2 shown]
	v_cmp_lt_u16_e32 vcc_lo, v76, v77
	v_cndmask_b32_e32 v75, v107, v75, vcc_lo
	v_add_co_u32 v12, vcc_lo, v12, v117
	v_add_co_ci_u32_e64 v13, null, 0, v13, vcc_lo
	v_add_co_u32 v14, vcc_lo, v14, v117
	flat_store_byte v[8:9], v22 glc slc
	flat_store_byte v[8:9], v23 offset:32 glc slc
	flat_store_byte v[8:9], v82 offset:64 glc slc
	flat_store_byte v[8:9], v83 offset:96 glc slc
	flat_store_byte v[8:9], v84 offset:128 glc slc
	flat_store_byte v[8:9], v85 offset:160 glc slc
	flat_store_byte v[8:9], v86 offset:192 glc slc
	flat_store_byte v[8:9], v87 offset:224 glc slc
	flat_store_byte v[8:9], v60 offset:256 glc slc
	flat_store_byte v[8:9], v61 offset:288 glc slc
	flat_store_byte v[8:9], v62 offset:320 glc slc
	flat_store_byte v[8:9], v63 offset:352 glc slc
	flat_store_byte v[8:9], v72 offset:384 glc slc
	flat_store_byte v[8:9], v73 offset:416 glc slc
	flat_store_byte v[8:9], v74 offset:448 glc slc
	flat_store_byte v[8:9], v75 offset:480 glc slc
	flat_store_byte v[10:11], v22 glc slc
	flat_store_byte v[10:11], v23 offset:32 glc slc
	flat_store_byte v[10:11], v82 offset:64 glc slc
	;; [unrolled: 1-line block ×15, first 2 shown]
	v_add_co_ci_u32_e64 v15, null, 0, v15, vcc_lo
	v_add_co_u32 v8, vcc_lo, v8, v117
	v_add_co_ci_u32_e64 v9, null, 0, v9, vcc_lo
	v_add_co_u32 v10, vcc_lo, v10, v117
	v_add_co_ci_u32_e64 v11, null, 0, v11, vcc_lo
	v_cmp_gt_i32_e32 vcc_lo, 1, v20
	s_or_b32 s17, vcc_lo, s17
	s_andn2_b32 exec_lo, exec_lo, s17
	s_cbranch_execnz .LBB4_586
; %bb.587:                              ;   in Loop: Header=BB4_491 Depth=2
	s_or_b32 exec_lo, exec_lo, s17
.LBB4_588:                              ;   in Loop: Header=BB4_491 Depth=2
	s_or_b32 exec_lo, exec_lo, s16
	v_lshlrev_b32_e32 v8, 9, v21
	v_cmp_ne_u32_e32 vcc_lo, v17, v8
	s_and_b32 exec_lo, exec_lo, vcc_lo
	s_cbranch_execz .LBB4_594
; %bb.589:                              ;   in Loop: Header=BB4_491 Depth=2
	v_lshlrev_b32_e32 v9, 5, v19
	v_lshlrev_b32_e32 v10, 5, v20
	v_sub_nc_u32_e32 v9, v18, v9
	v_sub_nc_u32_e32 v9, v9, v10
	v_add_nc_u32_e32 v8, v8, v9
	v_sub_nc_u32_e32 v17, v17, v8
	v_cmp_lt_i32_e32 vcc_lo, 0, v17
	s_and_b32 exec_lo, exec_lo, vcc_lo
	s_cbranch_execz .LBB4_594
; %bb.590:                              ;   in Loop: Header=BB4_491 Depth=2
	s_trap 2
	ds_read_b128 v[9:12], v0
	v_add_nc_u32_e32 v13, v8, v16
	s_and_b32 s21, s72, 0xff
	s_mov_b32 s73, 0
	v_ashrrev_i32_e32 v14, 31, v13
	s_waitcnt lgkmcnt(0)
	v_add_co_u32 v8, vcc_lo, v9, v13
	v_add_co_ci_u32_e64 v9, null, v10, v14, vcc_lo
	v_add_co_u32 v10, vcc_lo, v11, v13
	v_add_co_ci_u32_e64 v11, null, v12, v14, vcc_lo
	v_mov_b32_e32 v13, v9
	v_mov_b32_e32 v12, v8
	;; [unrolled: 1-line block ×4, first 2 shown]
.LBB4_591:                              ;   Parent Loop BB4_47 Depth=1
                                        ;     Parent Loop BB4_491 Depth=2
                                        ; =>    This Loop Header: Depth=3
                                        ;         Child Loop BB4_592 Depth 4
	flat_load_ubyte v16, v[14:15] slc
	flat_load_ubyte v18, v[12:13] slc
	s_mov_b64 s[18:19], 0
	s_mov_b32 s74, -1
	s_waitcnt vmcnt(1) lgkmcnt(1)
	v_xor_b32_e32 v19, s21, v16
	s_waitcnt vmcnt(0) lgkmcnt(0)
	v_xor_b32_e32 v20, s21, v18
	v_cmp_lt_u16_e32 vcc_lo, v20, v19
	v_cndmask_b32_e32 v16, v16, v18, vcc_lo
	.p2align	6
.LBB4_592:                              ;   Parent Loop BB4_47 Depth=1
                                        ;     Parent Loop BB4_491 Depth=2
                                        ;       Parent Loop BB4_591 Depth=3
                                        ; =>      This Inner Loop Header: Depth=4
	s_cmp_eq_u32 s18, 1
	s_cselect_b32 vcc_lo, -1, 0
	s_cmp_eq_u32 s18, 0
	v_cndmask_b32_e32 v18, v8, v10, vcc_lo
	v_cndmask_b32_e32 v19, v9, v11, vcc_lo
	s_mov_b64 s[18:19], 1
	v_add_co_u32 v20, s16, v18, 32
	v_add_co_ci_u32_e64 v21, null, 0, v19, s16
	s_cselect_b32 s16, -1, 0
	v_cndmask_b32_e32 v10, v10, v20, vcc_lo
	v_cndmask_b32_e64 v8, v8, v20, s16
	v_cndmask_b32_e32 v11, v11, v21, vcc_lo
	v_cndmask_b32_e64 v9, v9, v21, s16
	s_and_b32 s17, exec_lo, s74
	s_mov_b32 s74, 0
	s_mov_b32 vcc_lo, s17
	flat_store_byte v[18:19], v16 glc slc
	s_cbranch_vccnz .LBB4_592
; %bb.593:                              ;   in Loop: Header=BB4_591 Depth=3
	v_add_co_u32 v12, vcc_lo, v12, v45
	v_sub_nc_u32_e32 v17, v17, v112
	v_add_co_ci_u32_e64 v13, null, v13, v46, vcc_lo
	v_add_co_u32 v14, vcc_lo, v14, v45
	v_add_co_ci_u32_e64 v15, null, v15, v46, vcc_lo
	v_add_co_u32 v8, vcc_lo, v8, v119
	v_add_co_ci_u32_e64 v9, null, v9, v42, vcc_lo
	v_cmp_gt_i32_e32 vcc_lo, 1, v17
	v_add_co_u32 v10, s16, v10, v119
	v_add_co_ci_u32_e64 v11, null, v11, v42, s16
	s_or_b32 s73, vcc_lo, s73
	s_andn2_b32 exec_lo, exec_lo, s73
	s_cbranch_execnz .LBB4_591
.LBB4_594:                              ;   in Loop: Header=BB4_491 Depth=2
	s_or_b32 exec_lo, exec_lo, s20
	s_mov_b32 s16, 0
.LBB4_595:                              ;   in Loop: Header=BB4_491 Depth=2
	s_and_b32 vcc_lo, exec_lo, s16
	s_cbranch_vccz .LBB4_622
; %bb.596:                              ;   in Loop: Header=BB4_491 Depth=2
	s_mov_b32 s16, -1
	s_and_saveexec_b32 s17, s14
	s_cbranch_execz .LBB4_598
; %bb.597:                              ;   in Loop: Header=BB4_491 Depth=2
	ds_read_b32 v8, v0 offset:720
	s_waitcnt lgkmcnt(0)
	v_and_b32_e32 v8, 15, v8
	v_cmp_eq_u32_e32 vcc_lo, 0, v8
	s_orn2_b32 s16, vcc_lo, exec_lo
.LBB4_598:                              ;   in Loop: Header=BB4_491 Depth=2
	s_or_b32 exec_lo, exec_lo, s17
	s_and_saveexec_b32 s17, s12
	s_cbranch_execz .LBB4_600
; %bb.599:                              ;   in Loop: Header=BB4_491 Depth=2
	ds_read_b32 v8, v0 offset:784
	s_waitcnt lgkmcnt(0)
	v_and_b32_e32 v8, 15, v8
	v_cmp_eq_u32_e32 vcc_lo, 0, v8
	s_and_b32 s18, s16, vcc_lo
	s_andn2_b32 s16, s16, exec_lo
	s_and_b32 s18, s18, exec_lo
	s_or_b32 s16, s16, s18
.LBB4_600:                              ;   in Loop: Header=BB4_491 Depth=2
	s_or_b32 exec_lo, exec_lo, s17
	s_xor_b32 s16, s16, -1
	v_mov_b32_e32 v14, 0
	v_cndmask_b32_e64 v8, 0, 1, s16
	v_mov_b32_e32 v15, v59
	v_mov_b32_e32 v16, v0
	s_mov_b32 s16, -1
	v_cmp_ne_u32_e32 vcc_lo, 0, v8
	s_cbranch_vccz .LBB4_602
; %bb.601:                              ;   in Loop: Header=BB4_491 Depth=2
	s_and_saveexec_b32 s73, s16
	s_cbranch_execnz .LBB4_613
	s_branch .LBB4_621
.LBB4_602:                              ;   in Loop: Header=BB4_491 Depth=2
	v_ashrrev_i32_e32 v8, 31, v59
	s_mov_b32 s17, exec_lo
	v_lshrrev_b32_e32 v8, 22, v8
	v_add_nc_u32_e32 v8, v59, v8
	v_ashrrev_i32_e32 v61, 10, v8
	v_sub_nc_u32_e32 v60, v61, v103
	v_cmpx_lt_i32_e32 0, v60
	s_cbranch_execz .LBB4_606
; %bb.603:                              ;   in Loop: Header=BB4_491 Depth=2
	s_trap 2
	ds_read_b64 v[8:9], v0
	v_add_co_u32 v82, vcc_lo, v69, v40
	v_add_co_ci_u32_e64 v83, null, 0, v70, vcc_lo
	v_add_co_u32 v84, vcc_lo, v80, v40
	v_add_co_ci_u32_e64 v85, null, 0, v81, vcc_lo
	s_and_b32 s19, s72, 0xff
	s_mov_b32 s18, 0
	s_mul_i32 s19, s19, 0x1010101
	s_waitcnt lgkmcnt(0)
	v_add_co_u32 v86, vcc_lo, v8, v40
	v_add_co_ci_u32_e64 v87, null, 0, v9, vcc_lo
.LBB4_604:                              ;   Parent Loop BB4_47 Depth=1
                                        ;     Parent Loop BB4_491 Depth=2
                                        ; =>    This Inner Loop Header: Depth=3
	global_load_dwordx4 v[8:11], v[82:83], off slc
	global_load_dwordx4 v[20:23], v[86:87], off slc
	global_load_dwordx4 v[12:15], v[82:83], off offset:512 slc
	global_load_dwordx4 v[16:19], v[86:87], off offset:512 slc
	v_sub_nc_u32_e32 v60, v60, v101
	v_add_co_u32 v82, vcc_lo, v82, v118
	v_add_co_ci_u32_e64 v83, null, 0, v83, vcc_lo
	v_add_co_u32 v86, vcc_lo, v86, v118
	v_add_co_ci_u32_e64 v87, null, 0, v87, vcc_lo
	v_cmp_gt_i32_e32 vcc_lo, 1, v60
	s_or_b32 s18, vcc_lo, s18
	s_waitcnt vmcnt(3)
	v_xor_b32_e32 v62, s19, v8
	s_waitcnt vmcnt(2)
	v_xor3_b32 v63, s19, -1, v20
	v_xor_b32_e32 v72, s19, v9
	v_xnor_b32_e32 v73, s19, v21
	v_xor_b32_e32 v74, s19, v10
	v_xnor_b32_e32 v75, s19, v22
	v_xor_b32_e32 v76, s19, v11
	v_xnor_b32_e32 v77, s19, v23
	s_waitcnt vmcnt(1)
	v_xor_b32_e32 v78, s19, v12
	s_waitcnt vmcnt(0)
	v_xnor_b32_e32 v79, s19, v16
	v_xor_b32_e32 v88, s19, v13
	v_xnor_b32_e32 v89, s19, v17
	v_xor_b32_e32 v90, s19, v14
	;; [unrolled: 2-line block ×3, first 2 shown]
	v_xnor_b32_e32 v93, s19, v19
	v_and_b32_e32 v94, 0xff00ff, v62
	v_and_b32_e32 v95, 0xff00ff, v63
	v_lshrrev_b32_e32 v62, 8, v62
	v_lshrrev_b32_e32 v63, 8, v63
	v_and_b32_e32 v104, 0xff00ff, v72
	v_and_b32_e32 v105, 0xff00ff, v73
	v_lshrrev_b32_e32 v72, 8, v72
	v_lshrrev_b32_e32 v73, 8, v73
	;; [unrolled: 4-line block ×8, first 2 shown]
	v_add3_u32 v94, v94, v95, 0x1010101
	v_and_b32_e32 v62, 0xff00ff, v62
	v_and_b32_e32 v63, 0xff00ff, v63
	v_add3_u32 v95, v104, v105, 0x1010101
	v_and_b32_e32 v72, 0xff00ff, v72
	v_and_b32_e32 v73, 0xff00ff, v73
	;; [unrolled: 3-line block ×8, first 2 shown]
	v_add3_u32 v62, v62, v63, 0x1010101
	v_lshrrev_b32_e32 v63, 8, v94
	v_add3_u32 v72, v72, v73, 0x1010101
	v_lshrrev_b32_e32 v73, 8, v95
	;; [unrolled: 2-line block ×8, first 2 shown]
	v_and_b32_e32 v63, 0x10001, v63
	v_and_b32_e32 v73, 0x10001, v73
	;; [unrolled: 1-line block ×8, first 2 shown]
	v_and_or_b32 v62, 0x1000100, v62, v63
	v_and_or_b32 v63, 0x1000100, v72, v73
	;; [unrolled: 1-line block ×8, first 2 shown]
	v_mul_lo_u32 v62, 0xff, v62
	v_mul_lo_u32 v63, 0xff, v63
	;; [unrolled: 1-line block ×8, first 2 shown]
	v_bfi_b32 v8, v62, v8, v20
	v_bfi_b32 v9, v63, v9, v21
	;; [unrolled: 1-line block ×8, first 2 shown]
	global_store_dwordx4 v[84:85], v[8:11], off glc slc
	global_store_dwordx4 v[84:85], v[12:15], off offset:512 glc slc
	v_add_co_u32 v84, s16, v84, v118
	v_add_co_ci_u32_e64 v85, null, 0, v85, s16
	s_andn2_b32 exec_lo, exec_lo, s18
	s_cbranch_execnz .LBB4_604
; %bb.605:                              ;   in Loop: Header=BB4_491 Depth=2
	s_or_b32 exec_lo, exec_lo, s18
.LBB4_606:                              ;   in Loop: Header=BB4_491 Depth=2
	s_or_b32 exec_lo, exec_lo, s17
	v_lshlrev_b32_e32 v17, 10, v61
	v_mov_b32_e32 v14, 0
	s_mov_b32 s16, 0
	s_mov_b32 s18, exec_lo
                                        ; implicit-def: $vgpr15
                                        ; implicit-def: $vgpr16
	v_cmpx_ne_u32_e64 v59, v17
	s_cbranch_execz .LBB4_612
; %bb.607:                              ;   in Loop: Header=BB4_491 Depth=2
	v_lshlrev_b32_e32 v8, 5, v60
	v_sub_nc_u32_e32 v10, v59, v17
	s_mov_b32 s19, exec_lo
	v_sub_nc_u32_e32 v8, v102, v8
	v_ashrrev_i32_e32 v11, 31, v10
	v_ashrrev_i32_e32 v9, 31, v8
	v_lshrrev_b32_e32 v11, 23, v11
	v_lshrrev_b32_e32 v9, 27, v9
	v_add_nc_u32_e32 v11, v10, v11
	v_add_nc_u32_e32 v9, v8, v9
	v_and_b32_e32 v14, 0xfffffe00, v11
	v_ashrrev_i32_e32 v11, 9, v11
	v_and_b32_e32 v12, 0xffffffe0, v9
	v_sub_nc_u32_e32 v15, v10, v14
	v_ashrrev_i32_e32 v9, 5, v9
	v_sub_nc_u32_e32 v16, v8, v12
	v_cmp_lt_i32_e32 vcc_lo, 15, v15
	v_lshlrev_b32_e32 v8, 4, v16
	v_add_co_ci_u32_e64 v11, null, 0, v11, vcc_lo
	v_lshl_add_u32 v8, v9, 9, v8
	v_sub_nc_u32_e32 v18, v11, v9
	v_sub_nc_u32_e32 v19, v10, v8
	v_cmpx_lt_i32_e32 15, v19
	s_cbranch_execz .LBB4_611
; %bb.608:                              ;   in Loop: Header=BB4_491 Depth=2
	s_trap 2
	ds_read_b64 v[12:13], v0
	v_add_nc_u32_e32 v20, v8, v17
	s_and_b32 s21, s72, 0xff
	s_mov_b32 s20, 0
	s_mul_i32 s21, s21, 0x1010101
	v_ashrrev_i32_e32 v21, 31, v20
	v_add_co_u32 v8, s16, v20, v69
	v_add_co_ci_u32_e64 v9, null, v21, v70, s16
	v_add_co_u32 v10, s16, v20, v80
	v_add_co_ci_u32_e64 v11, null, v21, v81, s16
	s_waitcnt lgkmcnt(0)
	v_add_co_u32 v12, s16, v12, v20
	v_add_co_ci_u32_e64 v13, null, v13, v21, s16
.LBB4_609:                              ;   Parent Loop BB4_47 Depth=1
                                        ;     Parent Loop BB4_491 Depth=2
                                        ; =>    This Inner Loop Header: Depth=3
	global_load_dwordx4 v[20:23], v[12:13], off slc
	global_load_dwordx4 v[82:85], v[8:9], off slc
	v_sub_nc_u32_e32 v19, v19, v117
	v_add_co_u32 v8, s16, v8, v117
	v_add_co_ci_u32_e64 v9, null, 0, v9, s16
	v_add_co_u32 v12, s16, v12, v117
	v_add_co_ci_u32_e64 v13, null, 0, v13, s16
	v_cmp_gt_i32_e64 s16, 16, v19
	v_sub_nc_u32_e32 v18, v18, v101
	s_or_b32 s20, s16, s20
	s_waitcnt vmcnt(1)
	v_xor3_b32 v86, s21, -1, v20
	v_xnor_b32_e32 v87, s21, v21
	v_xnor_b32_e32 v60, s21, v22
	;; [unrolled: 1-line block ×3, first 2 shown]
	s_waitcnt vmcnt(0)
	v_xor_b32_e32 v62, s21, v82
	v_xor_b32_e32 v63, s21, v83
	;; [unrolled: 1-line block ×4, first 2 shown]
	v_and_b32_e32 v74, 0xff00ff, v86
	v_lshrrev_b32_e32 v86, 8, v86
	v_and_b32_e32 v75, 0xff00ff, v87
	v_lshrrev_b32_e32 v87, 8, v87
	;; [unrolled: 2-line block ×3, first 2 shown]
	v_and_b32_e32 v77, 0xff00ff, v61
	v_and_b32_e32 v78, 0xff00ff, v62
	v_lshrrev_b32_e32 v62, 8, v62
	v_and_b32_e32 v79, 0xff00ff, v63
	v_lshrrev_b32_e32 v63, 8, v63
	;; [unrolled: 2-line block ×4, first 2 shown]
	v_lshrrev_b32_e32 v73, 8, v73
	v_and_b32_e32 v86, 0xff00ff, v86
	v_and_b32_e32 v87, 0xff00ff, v87
	;; [unrolled: 1-line block ×3, first 2 shown]
	v_add3_u32 v74, v78, v74, 0x1010101
	v_and_b32_e32 v62, 0xff00ff, v62
	v_add3_u32 v75, v79, v75, 0x1010101
	v_and_b32_e32 v63, 0xff00ff, v63
	v_add3_u32 v76, v88, v76, 0x1010101
	v_and_b32_e32 v72, 0xff00ff, v72
	v_add3_u32 v77, v89, v77, 0x1010101
	v_and_b32_e32 v61, 0xff00ff, v61
	v_and_b32_e32 v73, 0xff00ff, v73
	v_add3_u32 v86, v62, v86, 0x1010101
	v_lshrrev_b32_e32 v62, 8, v74
	v_add3_u32 v87, v63, v87, 0x1010101
	v_lshrrev_b32_e32 v63, 8, v75
	;; [unrolled: 2-line block ×3, first 2 shown]
	v_lshrrev_b32_e32 v74, 8, v77
	v_add3_u32 v61, v73, v61, 0x1010101
	v_and_b32_e32 v62, 0x10001, v62
	v_and_b32_e32 v63, 0x10001, v63
	;; [unrolled: 1-line block ×4, first 2 shown]
	v_and_or_b32 v86, 0x1000100, v86, v62
	v_and_or_b32 v87, 0x1000100, v87, v63
	;; [unrolled: 1-line block ×4, first 2 shown]
	v_mul_lo_u32 v86, 0xff, v86
	v_mul_lo_u32 v87, 0xff, v87
	v_mul_lo_u32 v60, 0xff, v60
	v_mul_lo_u32 v61, 0xff, v61
	v_bfi_b32 v20, v86, v82, v20
	v_bfi_b32 v21, v87, v83, v21
	;; [unrolled: 1-line block ×4, first 2 shown]
	global_store_dwordx4 v[10:11], v[20:23], off glc slc
	v_add_co_u32 v10, s17, v10, v117
	v_add_co_ci_u32_e64 v11, null, 0, v11, s17
	s_andn2_b32 exec_lo, exec_lo, s20
	s_cbranch_execnz .LBB4_609
; %bb.610:                              ;   in Loop: Header=BB4_491 Depth=2
	s_or_b32 exec_lo, exec_lo, s20
.LBB4_611:                              ;   in Loop: Header=BB4_491 Depth=2
	s_or_b32 exec_lo, exec_lo, s19
	v_and_b32_e32 v8, 15, v59
	v_cmp_lt_i32_e64 s16, 0, v18
	v_sub_nc_u32_e32 v9, v15, v8
	v_cndmask_b32_e64 v10, 0, v101, s16
	v_cndmask_b32_e32 v15, v15, v8, vcc_lo
	v_cndmask_b32_e32 v8, 0, v9, vcc_lo
	v_sub_nc_u32_e32 v9, v10, v18
	v_cmp_ne_u32_e32 vcc_lo, 0, v15
	v_add3_u32 v14, v14, v17, v8
	v_lshl_add_u32 v16, v9, 5, v16
	s_and_b32 s16, vcc_lo, exec_lo
.LBB4_612:                              ;   in Loop: Header=BB4_491 Depth=2
	s_or_b32 exec_lo, exec_lo, s18
	s_and_saveexec_b32 s73, s16
	s_cbranch_execz .LBB4_621
.LBB4_613:                              ;   in Loop: Header=BB4_491 Depth=2
	v_ashrrev_i32_e32 v8, 31, v16
	v_ashrrev_i32_e32 v9, 31, v15
	s_mov_b32 s74, exec_lo
	v_lshrrev_b32_e32 v8, 27, v8
	v_lshrrev_b32_e32 v9, 23, v9
	v_add_nc_u32_e32 v8, v16, v8
	v_add_nc_u32_e32 v9, v15, v9
	v_ashrrev_i32_e32 v17, 5, v8
	v_ashrrev_i32_e32 v19, 9, v9
	v_sub_nc_u32_e32 v18, v19, v17
	v_cmpx_lt_i32_e32 0, v18
	s_cbranch_execz .LBB4_617
; %bb.614:                              ;   in Loop: Header=BB4_491 Depth=2
	v_and_b32_e32 v8, 0xffffffe0, v8
	s_trap 2
	ds_read_b64 v[10:11], v0
	v_lshlrev_b32_e32 v9, 9, v17
	v_add_co_u32 v20, vcc_lo, 0x1e0, v80
	v_sub_nc_u32_e32 v8, v16, v8
	v_add_co_ci_u32_e64 v21, null, 0, v81, vcc_lo
	s_and_b32 s75, s72, 0xff
	s_mov_b32 s76, 0
	v_add3_u32 v12, v14, v8, v9
	v_ashrrev_i32_e32 v13, 31, v12
	v_add_co_u32 v8, vcc_lo, v12, v69
	v_add_co_ci_u32_e64 v9, null, v13, v70, vcc_lo
	s_waitcnt lgkmcnt(0)
	v_add_co_u32 v10, vcc_lo, v10, v12
	v_add_co_ci_u32_e64 v11, null, v11, v13, vcc_lo
	v_add_co_u32 v12, vcc_lo, v20, v12
	v_add_co_ci_u32_e64 v13, null, v21, v13, vcc_lo
.LBB4_615:                              ;   Parent Loop BB4_47 Depth=1
                                        ;     Parent Loop BB4_491 Depth=2
                                        ; =>    This Inner Loop Header: Depth=3
	flat_load_ubyte v20, v[8:9] slc
	flat_load_ubyte v21, v[10:11] slc
	flat_load_ubyte v22, v[8:9] offset:32 slc
	flat_load_ubyte v23, v[10:11] offset:32 slc
	;; [unrolled: 1-line block ×8, first 2 shown]
	v_sub_nc_u32_e32 v18, v18, v101
	s_waitcnt vmcnt(9) lgkmcnt(9)
	v_xor_b32_e32 v84, s75, v20
	s_waitcnt vmcnt(8) lgkmcnt(8)
	v_xor_b32_e32 v85, s75, v21
	v_cmp_lt_u16_e32 vcc_lo, v84, v85
	flat_load_ubyte v84, v[8:9] offset:160 slc
	flat_load_ubyte v86, v[10:11] offset:160 slc
	;; [unrolled: 1-line block ×22, first 2 shown]
	v_add_co_u32 v10, s21, v10, v117
	v_cndmask_b32_e32 v85, v21, v20, vcc_lo
	v_add_co_u32 v20, vcc_lo, 0xfffffe20, v12
	v_add_co_ci_u32_e64 v21, null, -1, v13, vcc_lo
	v_add_co_ci_u32_e64 v11, null, 0, v11, s21
	flat_store_byte v[20:21], v85 glc slc
	s_waitcnt vmcnt(29) lgkmcnt(30)
	v_xor_b32_e32 v20, s75, v22
	s_waitcnt vmcnt(28) lgkmcnt(29)
	v_xor_b32_e32 v21, s75, v23
	v_cmp_lt_u16_e32 vcc_lo, v20, v21
	v_cndmask_b32_e32 v22, v23, v22, vcc_lo
	v_add_co_u32 v20, vcc_lo, 0xfffffe40, v12
	v_add_co_ci_u32_e64 v21, null, -1, v13, vcc_lo
	flat_store_byte v[20:21], v22 glc slc
	s_waitcnt vmcnt(27) lgkmcnt(29)
	v_xor_b32_e32 v20, s75, v69
	s_waitcnt vmcnt(26) lgkmcnt(28)
	v_xor_b32_e32 v21, s75, v70
	v_cmp_lt_u16_e32 vcc_lo, v20, v21
	v_cndmask_b32_e32 v22, v70, v69, vcc_lo
	v_add_co_u32 v20, vcc_lo, 0xfffffe60, v12
	v_add_co_ci_u32_e64 v21, null, -1, v13, vcc_lo
	;; [unrolled: 9-line block ×4, first 2 shown]
	flat_store_byte v[20:21], v22 glc slc
	s_waitcnt vmcnt(20) lgkmcnt(25)
	v_xor_b32_e32 v21, s75, v86
	v_xor_b32_e32 v20, s75, v84
	v_cmp_lt_u16_e32 vcc_lo, v20, v21
	v_cndmask_b32_e32 v22, v86, v84, vcc_lo
	v_add_co_u32 v20, vcc_lo, 0xfffffec0, v12
	v_add_co_ci_u32_e64 v21, null, -1, v13, vcc_lo
	flat_store_byte v[20:21], v22 glc slc
	s_waitcnt vmcnt(19) lgkmcnt(25)
	v_xor_b32_e32 v20, s75, v87
	s_waitcnt vmcnt(18) lgkmcnt(24)
	v_xor_b32_e32 v21, s75, v60
	v_cmp_lt_u16_e32 vcc_lo, v20, v21
	v_cndmask_b32_e32 v22, v60, v87, vcc_lo
	v_add_co_u32 v20, vcc_lo, 0xfffffee0, v12
	v_add_co_ci_u32_e64 v21, null, -1, v13, vcc_lo
	flat_store_byte v[20:21], v22 glc slc
	s_waitcnt vmcnt(17) lgkmcnt(24)
	v_xor_b32_e32 v20, s75, v61
	s_waitcnt vmcnt(16) lgkmcnt(23)
	;; [unrolled: 9-line block ×6, first 2 shown]
	v_xor_b32_e32 v21, s75, v78
	v_cmp_lt_u16_e32 vcc_lo, v20, v21
	v_add_co_u32 v20, s16, 0xffffff80, v12
	v_add_co_ci_u32_e64 v21, null, -1, v13, s16
	v_cndmask_b32_e32 v22, v78, v77, vcc_lo
	flat_store_byte v[20:21], v22 glc slc
	s_waitcnt vmcnt(7) lgkmcnt(19)
	v_xor_b32_e32 v21, s75, v79
	s_waitcnt vmcnt(6) lgkmcnt(18)
	v_xor_b32_e32 v22, s75, v88
	v_add_co_u32 v20, vcc_lo, 0xffffffa0, v12
	v_cmp_lt_u16_e64 s16, v21, v22
	s_waitcnt vmcnt(5) lgkmcnt(17)
	v_xor_b32_e32 v21, s75, v89
	s_waitcnt vmcnt(4) lgkmcnt(16)
	v_xor_b32_e32 v22, s75, v90
	v_cndmask_b32_e64 v80, v88, v79, s16
	v_add_co_u32 v69, s16, 0xffffffe0, v12
	v_cmp_lt_u16_e64 s17, v21, v22
	s_waitcnt vmcnt(3) lgkmcnt(15)
	v_xor_b32_e32 v21, s75, v91
	s_waitcnt vmcnt(2) lgkmcnt(14)
	v_xor_b32_e32 v22, s75, v92
	v_add_co_ci_u32_e64 v70, null, -1, v13, s16
	v_cndmask_b32_e64 v81, v90, v89, s17
	v_add_co_u32 v8, s17, v8, v117
	v_cmp_lt_u16_e64 s18, v21, v22
	s_waitcnt vmcnt(1) lgkmcnt(13)
	v_xor_b32_e32 v21, s75, v93
	s_waitcnt vmcnt(0) lgkmcnt(12)
	v_xor_b32_e32 v22, s75, v94
	v_add_co_ci_u32_e64 v9, null, 0, v9, s17
	v_cndmask_b32_e64 v82, v92, v91, s18
	v_cmp_lt_u16_e64 s19, v21, v22
	v_add_co_u32 v22, s20, 0xffffffc0, v12
	v_add_co_ci_u32_e64 v21, null, -1, v13, vcc_lo
	v_add_co_ci_u32_e64 v23, null, -1, v13, s20
	v_cndmask_b32_e64 v83, v94, v93, s19
	v_cmp_gt_i32_e32 vcc_lo, 1, v18
	flat_store_byte v[20:21], v80 glc slc
	flat_store_byte v[22:23], v81 glc slc
	;; [unrolled: 1-line block ×4, first 2 shown]
	v_add_co_u32 v12, s16, v12, v117
	v_add_co_ci_u32_e64 v13, null, 0, v13, s16
	s_or_b32 s76, vcc_lo, s76
	s_andn2_b32 exec_lo, exec_lo, s76
	s_cbranch_execnz .LBB4_615
; %bb.616:                              ;   in Loop: Header=BB4_491 Depth=2
	s_or_b32 exec_lo, exec_lo, s76
.LBB4_617:                              ;   in Loop: Header=BB4_491 Depth=2
	s_or_b32 exec_lo, exec_lo, s74
	v_lshlrev_b32_e32 v8, 9, v19
	v_cmp_ne_u32_e32 vcc_lo, v15, v8
	s_and_b32 exec_lo, exec_lo, vcc_lo
	s_cbranch_execz .LBB4_621
; %bb.618:                              ;   in Loop: Header=BB4_491 Depth=2
	v_lshlrev_b32_e32 v9, 5, v17
	v_lshlrev_b32_e32 v10, 5, v18
	v_sub_nc_u32_e32 v9, v16, v9
	v_sub_nc_u32_e32 v9, v9, v10
	v_add_nc_u32_e32 v8, v8, v9
	v_sub_nc_u32_e32 v15, v15, v8
	v_cmp_lt_i32_e32 vcc_lo, 0, v15
	s_and_b32 exec_lo, exec_lo, vcc_lo
	s_cbranch_execz .LBB4_621
; %bb.619:                              ;   in Loop: Header=BB4_491 Depth=2
	s_trap 2
	ds_read_b128 v[9:12], v0
	ds_read_b64 v[16:17], v0
	v_add_nc_u32_e32 v13, v8, v14
	s_and_b32 s17, s72, 0xff
	s_mov_b32 s18, 0
	v_ashrrev_i32_e32 v14, 31, v13
	s_waitcnt lgkmcnt(1)
	v_add_co_u32 v8, vcc_lo, v9, v13
	v_add_co_ci_u32_e64 v9, null, v10, v14, vcc_lo
	v_add_co_u32 v10, vcc_lo, v11, v13
	v_add_co_ci_u32_e64 v11, null, v12, v14, vcc_lo
	s_waitcnt lgkmcnt(0)
	v_add_co_u32 v12, vcc_lo, v16, v13
	v_add_co_ci_u32_e64 v13, null, v17, v14, vcc_lo
	.p2align	6
.LBB4_620:                              ;   Parent Loop BB4_47 Depth=1
                                        ;     Parent Loop BB4_491 Depth=2
                                        ; =>    This Inner Loop Header: Depth=3
	flat_load_ubyte v14, v[10:11] slc
	flat_load_ubyte v16, v[8:9] slc
	v_sub_nc_u32_e32 v15, v15, v112
	v_add_co_u32 v8, vcc_lo, v8, v112
	v_add_co_ci_u32_e64 v9, null, 0, v9, vcc_lo
	v_add_co_u32 v10, vcc_lo, v10, v112
	v_add_co_ci_u32_e64 v11, null, 0, v11, vcc_lo
	v_cmp_gt_i32_e32 vcc_lo, 1, v15
	s_or_b32 s18, vcc_lo, s18
	s_waitcnt vmcnt(1) lgkmcnt(1)
	v_xor_b32_e32 v17, s17, v14
	s_waitcnt vmcnt(0) lgkmcnt(0)
	v_xor_b32_e32 v18, s17, v16
	v_cmp_lt_u16_e64 s16, v18, v17
	v_cndmask_b32_e64 v14, v14, v16, s16
	flat_store_byte v[12:13], v14 glc slc
	v_add_co_u32 v12, s16, v12, v112
	v_add_co_ci_u32_e64 v13, null, 0, v13, s16
	s_andn2_b32 exec_lo, exec_lo, s18
	s_cbranch_execnz .LBB4_620
.LBB4_621:                              ;   in Loop: Header=BB4_491 Depth=2
	s_or_b32 exec_lo, exec_lo, s73
.LBB4_622:                              ;   in Loop: Header=BB4_491 Depth=2
	v_cmp_lt_i32_e64 s16, 0, v59
	s_and_saveexec_b32 s17, s6
	s_cbranch_execz .LBB4_567
.LBB4_623:                              ;   in Loop: Header=BB4_491 Depth=2
	s_and_saveexec_b32 s18, s29
	s_xor_b32 s18, exec_lo, s18
	s_cbranch_execz .LBB4_638
; %bb.624:                              ;   in Loop: Header=BB4_491 Depth=2
	s_and_saveexec_b32 s19, s11
	s_cbranch_execz .LBB4_637
; %bb.625:                              ;   in Loop: Header=BB4_491 Depth=2
	s_mov_b32 s21, exec_lo
	s_mov_b32 s20, exec_lo
	v_mbcnt_lo_u32_b32 v8, s21, 0
	s_waitcnt vmcnt(0) lgkmcnt(0)
	s_waitcnt_vscnt null, 0x0
	buffer_gl1_inv
	buffer_gl0_inv
	v_cmpx_eq_u32_e32 0, v8
	s_cbranch_execz .LBB4_627
; %bb.626:                              ;   in Loop: Header=BB4_491 Depth=2
	s_bcnt1_i32_b32 s21, s21
	v_mov_b32_e32 v9, v2
	v_mov_b32_e32 v8, s21
	ds_add_u64 v0, v[8:9]
	s_trap 2
.LBB4_627:                              ;   in Loop: Header=BB4_491 Depth=2
	s_or_b32 exec_lo, exec_lo, s20
	s_trap 2
	ds_read_b64 v[8:9], v0
	s_waitcnt lgkmcnt(0)
	buffer_gl0_inv
	v_add_co_u32 v38, vcc_lo, v38, v101
	v_add_co_ci_u32_e64 v39, null, 0, v39, vcc_lo
	s_mov_b32 s20, exec_lo
	v_cmpx_lt_u64_e64 v[8:9], v[38:39]
	s_cbranch_execz .LBB4_636
; %bb.628:                              ;   in Loop: Header=BB4_491 Depth=2
	s_mov_b32 s21, 0
	s_mov_b32 s74, 0
                                        ; implicit-def: $sgpr72
                                        ; implicit-def: $sgpr73
	s_inst_prefetch 0x1
	s_branch .LBB4_630
	.p2align	6
.LBB4_629:                              ;   in Loop: Header=BB4_630 Depth=3
	s_or_b32 exec_lo, exec_lo, s76
	s_and_b32 s75, exec_lo, s77
	s_or_b32 s21, s75, s21
	s_andn2_b32 s72, s72, exec_lo
	s_and_b32 s75, s73, exec_lo
	s_or_b32 s72, s72, s75
	s_andn2_b32 exec_lo, exec_lo, s21
	s_cbranch_execz .LBB4_634
.LBB4_630:                              ;   Parent Loop BB4_47 Depth=1
                                        ;     Parent Loop BB4_491 Depth=2
                                        ; =>    This Inner Loop Header: Depth=3
	s_add_i32 s74, s74, 1
	s_cmpk_lg_i32 s74, 0x2710
	s_cselect_b32 s75, -1, 0
	s_and_b32 vcc_lo, exec_lo, s75
	s_cbranch_vccz .LBB4_632
; %bb.631:                              ;   in Loop: Header=BB4_630 Depth=3
	s_mov_b32 s77, -1
	s_or_b32 s73, s73, exec_lo
	s_and_saveexec_b32 s76, s75
	s_cbranch_execz .LBB4_629
	s_branch .LBB4_633
	.p2align	6
.LBB4_632:                              ;   in Loop: Header=BB4_630 Depth=3
	s_trap 2
	ds_read_b64 v[8:9], v0
	s_andn2_b32 s75, s75, exec_lo
	s_mov_b32 s74, 0
	s_waitcnt lgkmcnt(0)
	flat_load_dword v8, v[8:9] glc dlc
	s_waitcnt vmcnt(0) lgkmcnt(0)
	buffer_gl1_inv
	buffer_gl0_inv
	v_cmp_eq_u32_e32 vcc_lo, 0, v8
	s_and_b32 s76, vcc_lo, exec_lo
	s_or_b32 s75, s75, s76
	s_mov_b32 s77, -1
	s_or_b32 s73, s73, exec_lo
	s_and_saveexec_b32 s76, s75
	s_cbranch_execz .LBB4_629
.LBB4_633:                              ;   in Loop: Header=BB4_630 Depth=3
	s_sleep 1
	s_trap 2
	ds_read_b64 v[8:9], v0
	s_waitcnt lgkmcnt(0)
	buffer_gl0_inv
	s_andn2_b32 s73, s73, exec_lo
	v_cmp_ge_u64_e32 vcc_lo, v[8:9], v[38:39]
	s_orn2_b32 s77, vcc_lo, exec_lo
	s_branch .LBB4_629
.LBB4_634:                              ;   in Loop: Header=BB4_491 Depth=2
	s_inst_prefetch 0x2
	s_or_b32 exec_lo, exec_lo, s21
	s_and_saveexec_b32 s21, s72
	s_xor_b32 s21, exec_lo, s21
	s_cbranch_execz .LBB4_636
; %bb.635:                              ;   in Loop: Header=BB4_491 Depth=2
	ds_write_b32 v0, v113
	s_trap 2
.LBB4_636:                              ;   in Loop: Header=BB4_491 Depth=2
	s_or_b32 exec_lo, exec_lo, s20
	;;#ASMSTART
	s_wakeup
	;;#ASMEND
.LBB4_637:                              ;   in Loop: Header=BB4_491 Depth=2
	s_or_b32 exec_lo, exec_lo, s19
.LBB4_638:                              ;   in Loop: Header=BB4_491 Depth=2
	s_andn2_saveexec_b32 s18, s18
	s_cbranch_execz .LBB4_640
; %bb.639:                              ;   in Loop: Header=BB4_491 Depth=2
	s_waitcnt vmcnt(0) lgkmcnt(0)
	s_waitcnt_vscnt null, 0x0
	buffer_gl1_inv
	buffer_gl0_inv
	s_barrier
.LBB4_640:                              ;   in Loop: Header=BB4_491 Depth=2
	s_or_b32 exec_lo, exec_lo, s18
	s_or_b32 exec_lo, exec_lo, s17
                                        ; implicit-def: $vgpr8
	s_and_saveexec_b32 s17, s15
	s_xor_b32 s17, exec_lo, s17
	s_cbranch_execnz .LBB4_568
.LBB4_641:                              ;   in Loop: Header=BB4_491 Depth=2
	s_andn2_saveexec_b32 s16, s17
	s_cbranch_execz .LBB4_660
.LBB4_642:                              ;   in Loop: Header=BB4_491 Depth=2
	s_and_saveexec_b32 s17, s29
	s_xor_b32 s17, exec_lo, s17
	s_cbranch_execz .LBB4_657
; %bb.643:                              ;   in Loop: Header=BB4_491 Depth=2
	s_and_saveexec_b32 s18, s11
	s_cbranch_execz .LBB4_656
; %bb.644:                              ;   in Loop: Header=BB4_491 Depth=2
	s_mov_b32 s20, exec_lo
	s_mov_b32 s19, exec_lo
	v_mbcnt_lo_u32_b32 v8, s20, 0
	;;#ASMSTART
	s_waitcnt lgkmcnt(0) vmcnt(0)
	;;#ASMEND
	v_cmpx_eq_u32_e32 0, v8
	s_cbranch_execz .LBB4_646
; %bb.645:                              ;   in Loop: Header=BB4_491 Depth=2
	s_bcnt1_i32_b32 s20, s20
	v_mov_b32_e32 v9, v2
	v_mov_b32_e32 v8, s20
	s_waitcnt vmcnt(0) lgkmcnt(0)
	s_waitcnt_vscnt null, 0x0
	ds_add_u64 v0, v[8:9]
	s_trap 2
.LBB4_646:                              ;   in Loop: Header=BB4_491 Depth=2
	s_or_b32 exec_lo, exec_lo, s19
	s_trap 2
	ds_read_b64 v[8:9], v0
	s_waitcnt vmcnt(0) lgkmcnt(0)
	buffer_gl0_inv
	v_add_co_u32 v38, vcc_lo, v38, v101
	v_add_co_ci_u32_e64 v39, null, 0, v39, vcc_lo
	s_mov_b32 s19, exec_lo
	v_cmpx_lt_u64_e64 v[8:9], v[38:39]
	s_cbranch_execz .LBB4_655
; %bb.647:                              ;   in Loop: Header=BB4_491 Depth=2
	s_mov_b32 s20, 0
	s_mov_b32 s73, 0
                                        ; implicit-def: $sgpr21
                                        ; implicit-def: $sgpr72
	s_inst_prefetch 0x1
	s_branch .LBB4_649
	.p2align	6
.LBB4_648:                              ;   in Loop: Header=BB4_649 Depth=3
	s_or_b32 exec_lo, exec_lo, s75
	s_and_b32 s74, exec_lo, s76
	s_or_b32 s20, s74, s20
	s_andn2_b32 s21, s21, exec_lo
	s_and_b32 s74, s72, exec_lo
	s_or_b32 s21, s21, s74
	s_andn2_b32 exec_lo, exec_lo, s20
	s_cbranch_execz .LBB4_653
.LBB4_649:                              ;   Parent Loop BB4_47 Depth=1
                                        ;     Parent Loop BB4_491 Depth=2
                                        ; =>    This Inner Loop Header: Depth=3
	s_add_i32 s73, s73, 1
	s_cmpk_lg_i32 s73, 0x2710
	s_cselect_b32 s74, -1, 0
	s_and_b32 vcc_lo, exec_lo, s74
	s_cbranch_vccz .LBB4_651
; %bb.650:                              ;   in Loop: Header=BB4_649 Depth=3
	s_mov_b32 s76, -1
	s_or_b32 s72, s72, exec_lo
	s_and_saveexec_b32 s75, s74
	s_cbranch_execz .LBB4_648
	s_branch .LBB4_652
	.p2align	6
.LBB4_651:                              ;   in Loop: Header=BB4_649 Depth=3
	s_trap 2
	ds_read_b64 v[8:9], v0
	s_andn2_b32 s74, s74, exec_lo
	s_mov_b32 s73, 0
	s_waitcnt lgkmcnt(0)
	s_waitcnt_vscnt null, 0x0
	flat_load_dword v8, v[8:9] glc dlc
	s_waitcnt vmcnt(0) lgkmcnt(0)
	buffer_gl1_inv
	buffer_gl0_inv
	v_cmp_eq_u32_e32 vcc_lo, 0, v8
	s_and_b32 s75, vcc_lo, exec_lo
	s_or_b32 s74, s74, s75
	s_mov_b32 s76, -1
	s_or_b32 s72, s72, exec_lo
	s_and_saveexec_b32 s75, s74
	s_cbranch_execz .LBB4_648
.LBB4_652:                              ;   in Loop: Header=BB4_649 Depth=3
	s_sleep 1
	s_trap 2
	ds_read_b64 v[8:9], v0
	s_waitcnt lgkmcnt(0)
	buffer_gl0_inv
	s_andn2_b32 s72, s72, exec_lo
	v_cmp_ge_u64_e32 vcc_lo, v[8:9], v[38:39]
	s_orn2_b32 s76, vcc_lo, exec_lo
	s_branch .LBB4_648
.LBB4_653:                              ;   in Loop: Header=BB4_491 Depth=2
	s_inst_prefetch 0x2
	s_or_b32 exec_lo, exec_lo, s20
	s_and_saveexec_b32 s20, s21
	s_xor_b32 s20, exec_lo, s20
	s_cbranch_execz .LBB4_655
; %bb.654:                              ;   in Loop: Header=BB4_491 Depth=2
	ds_write_b32 v0, v113
	s_trap 2
.LBB4_655:                              ;   in Loop: Header=BB4_491 Depth=2
	s_or_b32 exec_lo, exec_lo, s19
	;;#ASMSTART
	s_wakeup
	;;#ASMEND
.LBB4_656:                              ;   in Loop: Header=BB4_491 Depth=2
	s_or_b32 exec_lo, exec_lo, s18
.LBB4_657:                              ;   in Loop: Header=BB4_491 Depth=2
	s_andn2_saveexec_b32 s17, s17
	s_cbranch_execz .LBB4_659
; %bb.658:                              ;   in Loop: Header=BB4_491 Depth=2
	;;#ASMSTART
	s_waitcnt lgkmcnt(0) vmcnt(0)
	;;#ASMEND
	s_barrier
.LBB4_659:                              ;   in Loop: Header=BB4_491 Depth=2
	s_or_b32 exec_lo, exec_lo, s17
	v_and_b32_e32 v8, 16, v98
.LBB4_660:                              ;   in Loop: Header=BB4_491 Depth=2
	s_or_b32 exec_lo, exec_lo, s16
	v_cmp_ne_u32_e32 vcc_lo, 0, v8
	s_xor_b32 s16, s7, -1
	s_and_b32 s17, vcc_lo, s16
	s_and_saveexec_b32 s16, s17
	s_cbranch_execz .LBB4_662
; %bb.661:                              ;   in Loop: Header=BB4_491 Depth=2
	s_waitcnt vmcnt(0) lgkmcnt(0)
	s_waitcnt_vscnt null, 0x0
	flat_store_dword v[36:37], v113
.LBB4_662:                              ;   in Loop: Header=BB4_491 Depth=2
	s_or_b32 exec_lo, exec_lo, s16
	v_and_b32_e32 v8, 48, v98
	s_mov_b32 s16, exec_lo
	v_cmpx_ne_u32_e32 0, v8
	s_cbranch_execz .LBB4_490
; %bb.663:                              ;   in Loop: Header=BB4_491 Depth=2
	v_add_co_u32 v64, vcc_lo, v64, 2
	v_add_co_ci_u32_e64 v65, null, 0, v65, vcc_lo
	s_waitcnt vmcnt(0) lgkmcnt(0)
	s_waitcnt_vscnt null, 0x0
	flat_store_dwordx2 v[32:33], v[64:65]
	s_branch .LBB4_490
.LBB4_664:                              ;   in Loop: Header=BB4_47 Depth=1
	s_or_b32 exec_lo, exec_lo, s61
.LBB4_665:                              ;   in Loop: Header=BB4_47 Depth=1
	s_or_b32 exec_lo, exec_lo, s23
	s_mov_b32 s17, exec_lo
	v_cmpx_gt_i32_e32 2, v10
	s_cbranch_execz .LBB4_741
; %bb.666:                              ;   in Loop: Header=BB4_47 Depth=1
	v_cmp_eq_u32_e64 s19, 0, v10
	s_mov_b32 s18, 0
	s_branch .LBB4_668
.LBB4_667:                              ;   in Loop: Header=BB4_668 Depth=2
	s_or_b32 exec_lo, exec_lo, s16
	v_add_nc_u32_e32 v71, v68, v71
	s_mov_b32 s19, 0
	s_andn2_b32 exec_lo, exec_lo, s18
	s_cbranch_execz .LBB4_740
.LBB4_668:                              ;   Parent Loop BB4_47 Depth=1
                                        ; =>  This Loop Header: Depth=2
                                        ;       Child Loop BB4_674 Depth 3
                                        ;       Child Loop BB4_702 Depth 3
	;; [unrolled: 1-line block ×3, first 2 shown]
	v_sub_nc_u32_e32 v8, v3, v71
	v_and_b32_e32 v9, 12, v98
	s_mov_b32 s20, exec_lo
	v_min_i32_e32 v68, v68, v8
	v_cmpx_ne_u32_e32 0, v9
	s_cbranch_execz .LBB4_694
; %bb.669:                              ;   in Loop: Header=BB4_668 Depth=2
	v_and_b32_e32 v16, 8, v98
	s_mov_b32 s21, exec_lo
	s_waitcnt vmcnt(0) lgkmcnt(1)
	v_add_co_u32 v10, vcc_lo, v48, v16
	v_add_co_ci_u32_e64 v11, null, 0, v49, vcc_lo
	v_add_co_u32 v8, vcc_lo, v64, 2
	v_add_co_ci_u32_e64 v9, null, 0, v65, vcc_lo
	v_cmpx_lt_u64_e64 v[10:11], v[8:9]
	s_cbranch_execz .LBB4_681
; %bb.670:                              ;   in Loop: Header=BB4_668 Depth=2
	v_and_b32_e32 v10, 64, v98
	s_mov_b32 s23, 0
	s_mov_b32 s72, 0
                                        ; implicit-def: $sgpr61
                                        ; implicit-def: $sgpr62
                                        ; implicit-def: $sgpr63
	v_cmp_eq_u32_e32 vcc_lo, 0, v10
	s_branch .LBB4_674
.LBB4_671:                              ;   in Loop: Header=BB4_674 Depth=3
	s_waitcnt vmcnt(0) lgkmcnt(0)
	v_add_co_u32 v11, s16, v48, v16
	v_add_co_ci_u32_e64 v12, null, 0, v49, s16
	s_or_b32 s75, s75, exec_lo
	v_cmp_ge_u64_e64 s16, v[11:12], v[8:9]
	s_orn2_b32 s74, s16, exec_lo
.LBB4_672:                              ;   in Loop: Header=BB4_674 Depth=3
	s_or_b32 exec_lo, exec_lo, s77
	s_andn2_b32 s16, s63, exec_lo
	s_and_b32 s63, s75, exec_lo
	s_andn2_b32 s62, s62, exec_lo
	s_and_b32 s74, s74, exec_lo
	s_or_b32 s63, s16, s63
	s_or_b32 s62, s62, s74
.LBB4_673:                              ;   in Loop: Header=BB4_674 Depth=3
	s_or_b32 exec_lo, exec_lo, s73
	s_and_b32 s16, exec_lo, s62
	s_or_b32 s23, s16, s23
	s_andn2_b32 s16, s61, exec_lo
	s_and_b32 s61, s63, exec_lo
	s_or_b32 s61, s16, s61
	s_andn2_b32 exec_lo, exec_lo, s23
	s_cbranch_execz .LBB4_678
.LBB4_674:                              ;   Parent Loop BB4_47 Depth=1
                                        ;     Parent Loop BB4_668 Depth=2
                                        ; =>    This Inner Loop Header: Depth=3
	s_sleep 1
	s_waitcnt vmcnt(0) lgkmcnt(0)
	flat_load_dwordx2 v[48:49], v[32:33] glc dlc
	s_or_b32 s63, s63, exec_lo
	s_or_b32 s62, s62, exec_lo
                                        ; implicit-def: $vgpr10
	s_and_saveexec_b32 s73, vcc_lo
	s_cbranch_execz .LBB4_673
; %bb.675:                              ;   in Loop: Header=BB4_674 Depth=3
	s_cmpk_lt_i32 s72, 0x270f
	s_mov_b32 s74, -1
	s_cselect_b32 s76, -1, 0
	s_cmpk_gt_i32 s72, 0x270e
	s_cbranch_scc0 .LBB4_677
; %bb.676:                              ;   in Loop: Header=BB4_674 Depth=3
	s_trap 2
	ds_read_b64 v[10:11], v0
	s_andn2_b32 s72, s76, exec_lo
	s_mov_b32 s75, 0
	s_waitcnt vmcnt(0) lgkmcnt(0)
	s_waitcnt_vscnt null, 0x0
	flat_load_dword v10, v[10:11] glc dlc
	s_waitcnt vmcnt(0) lgkmcnt(0)
	buffer_gl1_inv
	buffer_gl0_inv
	v_cmp_eq_u32_e64 s16, 0, v10
	s_and_b32 s16, s16, exec_lo
	s_or_b32 s76, s72, s16
	s_mov_b32 s72, 0
	s_and_saveexec_b32 s77, s76
	s_cbranch_execz .LBB4_672
	s_branch .LBB4_671
.LBB4_677:                              ;   in Loop: Header=BB4_674 Depth=3
	s_add_i32 s72, s72, 1
	s_mov_b32 s75, -1
                                        ; implicit-def: $vgpr10
	s_and_saveexec_b32 s77, s76
	s_cbranch_execz .LBB4_672
	s_branch .LBB4_671
.LBB4_678:                              ;   in Loop: Header=BB4_668 Depth=2
	s_or_b32 exec_lo, exec_lo, s23
	s_xor_b32 s16, s61, -1
	s_and_saveexec_b32 s23, s16
	s_xor_b32 s16, exec_lo, s23
	s_cbranch_execz .LBB4_680
; %bb.679:                              ;   in Loop: Header=BB4_668 Depth=2
	v_or_b32_e32 v98, 64, v98
	s_waitcnt vmcnt(0) lgkmcnt(0)
	s_waitcnt_vscnt null, 0x0
	ds_write_b32 v0, v10
	s_trap 2
.LBB4_680:                              ;   in Loop: Header=BB4_668 Depth=2
	s_or_b32 exec_lo, exec_lo, s16
.LBB4_681:                              ;   in Loop: Header=BB4_668 Depth=2
	s_or_b32 exec_lo, exec_lo, s21
	v_and_b32_e32 v10, 0x108, v98
	;;#ASMSTART
	s_wakeup
	;;#ASMEND
	v_cmp_ne_u32_e32 vcc_lo, 0x108, v10
                                        ; implicit-def: $vgpr10_vgpr11
	s_and_saveexec_b32 s16, vcc_lo
	s_xor_b32 s16, exec_lo, s16
; %bb.682:                              ;   in Loop: Header=BB4_668 Depth=2
	v_and_b32_e32 v10, 7, v64
	v_mov_b32_e32 v11, v2
                                        ; implicit-def: $vgpr64_vgpr65
; %bb.683:                              ;   in Loop: Header=BB4_668 Depth=2
	s_andn2_saveexec_b32 s16, s16
	s_cbranch_execz .LBB4_685
; %bb.684:                              ;   in Loop: Header=BB4_668 Depth=2
	v_and_b32_e32 v10, 7, v64
	v_ashrrev_i32_e32 v69, 31, v68
	v_mov_b32_e32 v11, v2
	v_mad_u64_u32 v[12:13], null, v10, 24, v[6:7]
	flat_store_dwordx2 v[12:13], v[68:69] offset:8
.LBB4_685:                              ;   in Loop: Header=BB4_668 Depth=2
	s_or_b32 exec_lo, exec_lo, s16
	v_and_b32_e32 v12, 0x100, v98
	s_mov_b32 s16, -1
	v_cmp_ne_u32_e32 vcc_lo, 0, v12
                                        ; implicit-def: $vgpr12_vgpr13
	s_and_saveexec_b32 s21, vcc_lo
	s_cbranch_execz .LBB4_689
; %bb.686:                              ;   in Loop: Header=BB4_668 Depth=2
	v_mad_u64_u32 v[14:15], null, v10, 24, v[6:7]
	v_mov_b32_e32 v12, v15
	v_mad_u64_u32 v[12:13], null, v11, 24, v[12:13]
	v_mov_b32_e32 v15, v12
	flat_load_dword v12, v[14:15]
	s_waitcnt vmcnt(0) lgkmcnt(0)
	v_cmp_eq_u32_e64 s16, 1, v12
	v_cmp_ne_u32_e32 vcc_lo, 1, v12
                                        ; implicit-def: $vgpr12_vgpr13
	s_and_saveexec_b32 s23, s16
	s_cbranch_execz .LBB4_688
; %bb.687:                              ;   in Loop: Header=BB4_668 Depth=2
	flat_load_dword v12, v[14:15] offset:4 glc dlc
	s_waitcnt vmcnt(0) lgkmcnt(0)
	v_ashrrev_i32_e32 v13, 31, v12
.LBB4_688:                              ;   in Loop: Header=BB4_668 Depth=2
	s_or_b32 exec_lo, exec_lo, s23
	s_orn2_b32 s16, vcc_lo, exec_lo
.LBB4_689:                              ;   in Loop: Header=BB4_668 Depth=2
	s_or_b32 exec_lo, exec_lo, s21
	s_and_saveexec_b32 s21, s16
; %bb.690:                              ;   in Loop: Header=BB4_668 Depth=2
	v_mul_lo_u32 v11, v11, v99
	v_mul_lo_u32 v14, v10, v100
	v_mad_u64_u32 v[12:13], null, v10, v99, 0
	v_add3_u32 v13, v13, v14, v11
; %bb.691:                              ;   in Loop: Header=BB4_668 Depth=2
	s_or_b32 exec_lo, exec_lo, s21
	v_cmp_eq_u32_e32 vcc_lo, 0, v16
	v_and_b32_e32 v15, 0x2000, v98
	s_mov_b32 s16, exec_lo
	v_cndmask_b32_e32 v14, 0xd0, v114, vcc_lo
	v_add_co_u32 v10, vcc_lo, v34, v12
	v_add_co_ci_u32_e64 v11, null, v35, v13, vcc_lo
	v_add_nc_u32_e32 v12, v0, v14
	ds_write_b64 v12, v[10:11] offset:584
	v_cmpx_ne_u32_e32 0, v15
	s_cbranch_execz .LBB4_693
; %bb.692:                              ;   in Loop: Header=BB4_668 Depth=2
	ds_read_b64 v[10:11], v0 offset:872
	s_waitcnt lgkmcnt(0)
	v_add_co_u32 v10, vcc_lo, v10, 1
	v_add_co_ci_u32_e64 v11, null, 0, v11, vcc_lo
	ds_write_b64 v0, v[10:11] offset:872
.LBB4_693:                              ;   in Loop: Header=BB4_668 Depth=2
	s_or_b32 exec_lo, exec_lo, s16
	v_mov_b32_e32 v65, v9
	v_mov_b32_e32 v64, v8
.LBB4_694:                              ;   in Loop: Header=BB4_668 Depth=2
	s_or_b32 exec_lo, exec_lo, s20
	s_xor_b32 s16, s19, -1
	s_and_b32 s16, exec_lo, s16
	s_or_b32 s18, s16, s18
	s_and_saveexec_b32 s16, s6
	s_cbranch_execz .LBB4_713
; %bb.695:                              ;   in Loop: Header=BB4_668 Depth=2
	s_and_saveexec_b32 s19, s29
	s_xor_b32 s19, exec_lo, s19
	s_cbranch_execz .LBB4_710
; %bb.696:                              ;   in Loop: Header=BB4_668 Depth=2
	s_and_saveexec_b32 s20, s11
	s_cbranch_execz .LBB4_709
; %bb.697:                              ;   in Loop: Header=BB4_668 Depth=2
	s_mov_b32 s23, exec_lo
	s_mov_b32 s21, exec_lo
	v_mbcnt_lo_u32_b32 v8, s23, 0
	s_waitcnt vmcnt(0) lgkmcnt(0)
	s_waitcnt_vscnt null, 0x0
	buffer_gl1_inv
	buffer_gl0_inv
	v_cmpx_eq_u32_e32 0, v8
	s_cbranch_execz .LBB4_699
; %bb.698:                              ;   in Loop: Header=BB4_668 Depth=2
	s_bcnt1_i32_b32 s23, s23
	v_mov_b32_e32 v9, v2
	v_mov_b32_e32 v8, s23
	ds_add_u64 v0, v[8:9]
	s_trap 2
.LBB4_699:                              ;   in Loop: Header=BB4_668 Depth=2
	s_or_b32 exec_lo, exec_lo, s21
	s_trap 2
	ds_read_b64 v[8:9], v0
	s_waitcnt lgkmcnt(0)
	buffer_gl0_inv
	v_add_co_u32 v38, vcc_lo, v38, v101
	v_add_co_ci_u32_e64 v39, null, 0, v39, vcc_lo
	s_mov_b32 s21, exec_lo
	v_cmpx_lt_u64_e64 v[8:9], v[38:39]
	s_cbranch_execz .LBB4_708
; %bb.700:                              ;   in Loop: Header=BB4_668 Depth=2
	s_mov_b32 s23, 0
	s_mov_b32 s63, 0
                                        ; implicit-def: $sgpr61
                                        ; implicit-def: $sgpr62
	s_inst_prefetch 0x1
	s_branch .LBB4_702
	.p2align	6
.LBB4_701:                              ;   in Loop: Header=BB4_702 Depth=3
	s_or_b32 exec_lo, exec_lo, s73
	s_and_b32 s72, exec_lo, s74
	s_or_b32 s23, s72, s23
	s_andn2_b32 s61, s61, exec_lo
	s_and_b32 s72, s62, exec_lo
	s_or_b32 s61, s61, s72
	s_andn2_b32 exec_lo, exec_lo, s23
	s_cbranch_execz .LBB4_706
.LBB4_702:                              ;   Parent Loop BB4_47 Depth=1
                                        ;     Parent Loop BB4_668 Depth=2
                                        ; =>    This Inner Loop Header: Depth=3
	s_add_i32 s63, s63, 1
	s_cmpk_lg_i32 s63, 0x2710
	s_cselect_b32 s72, -1, 0
	s_and_b32 vcc_lo, exec_lo, s72
	s_cbranch_vccz .LBB4_704
; %bb.703:                              ;   in Loop: Header=BB4_702 Depth=3
	s_mov_b32 s74, -1
	s_or_b32 s62, s62, exec_lo
	s_and_saveexec_b32 s73, s72
	s_cbranch_execz .LBB4_701
	s_branch .LBB4_705
	.p2align	6
.LBB4_704:                              ;   in Loop: Header=BB4_702 Depth=3
	s_trap 2
	ds_read_b64 v[8:9], v0
	s_andn2_b32 s72, s72, exec_lo
	s_mov_b32 s63, 0
	s_waitcnt lgkmcnt(0)
	flat_load_dword v8, v[8:9] glc dlc
	s_waitcnt vmcnt(0) lgkmcnt(0)
	buffer_gl1_inv
	buffer_gl0_inv
	v_cmp_eq_u32_e32 vcc_lo, 0, v8
	s_and_b32 s73, vcc_lo, exec_lo
	s_or_b32 s72, s72, s73
	s_mov_b32 s74, -1
	s_or_b32 s62, s62, exec_lo
	s_and_saveexec_b32 s73, s72
	s_cbranch_execz .LBB4_701
.LBB4_705:                              ;   in Loop: Header=BB4_702 Depth=3
	s_sleep 1
	s_trap 2
	ds_read_b64 v[8:9], v0
	s_waitcnt lgkmcnt(0)
	buffer_gl0_inv
	s_andn2_b32 s62, s62, exec_lo
	v_cmp_ge_u64_e32 vcc_lo, v[8:9], v[38:39]
	s_orn2_b32 s74, vcc_lo, exec_lo
	s_branch .LBB4_701
.LBB4_706:                              ;   in Loop: Header=BB4_668 Depth=2
	s_inst_prefetch 0x2
	s_or_b32 exec_lo, exec_lo, s23
	s_and_saveexec_b32 s23, s61
	s_xor_b32 s23, exec_lo, s23
	s_cbranch_execz .LBB4_708
; %bb.707:                              ;   in Loop: Header=BB4_668 Depth=2
	ds_write_b32 v0, v113
	s_trap 2
.LBB4_708:                              ;   in Loop: Header=BB4_668 Depth=2
	s_or_b32 exec_lo, exec_lo, s21
	;;#ASMSTART
	s_wakeup
	;;#ASMEND
.LBB4_709:                              ;   in Loop: Header=BB4_668 Depth=2
	s_or_b32 exec_lo, exec_lo, s20
.LBB4_710:                              ;   in Loop: Header=BB4_668 Depth=2
	s_andn2_saveexec_b32 s19, s19
	s_cbranch_execz .LBB4_712
; %bb.711:                              ;   in Loop: Header=BB4_668 Depth=2
	s_waitcnt vmcnt(0) lgkmcnt(0)
	s_waitcnt_vscnt null, 0x0
	buffer_gl1_inv
	buffer_gl0_inv
	s_barrier
.LBB4_712:                              ;   in Loop: Header=BB4_668 Depth=2
	s_or_b32 exec_lo, exec_lo, s19
.LBB4_713:                              ;   in Loop: Header=BB4_668 Depth=2
	s_or_b32 exec_lo, exec_lo, s16
                                        ; implicit-def: $vgpr8
	s_and_saveexec_b32 s16, s15
	s_xor_b32 s19, exec_lo, s16
	s_cbranch_execz .LBB4_717
; %bb.714:                              ;   in Loop: Header=BB4_668 Depth=2
	s_trap 2
	ds_read_b32 v8, v0
	v_cmp_lt_i32_e32 vcc_lo, 0, v68
	s_waitcnt lgkmcnt(0)
	v_readfirstlane_b32 s16, v8
	v_and_b32_e32 v8, 16, v98
	s_cmp_eq_u32 s16, 0
	v_cmp_ne_u32_e64 s16, 0, v8
	s_cselect_b32 s20, -1, 0
	v_and_b32_e32 v8, 16, v98
	s_and_b32 s20, vcc_lo, s20
	s_and_b32 s20, s16, s20
	s_and_saveexec_b32 s16, s20
	s_cbranch_execz .LBB4_716
; %bb.715:                              ;   in Loop: Header=BB4_668 Depth=2
	v_mov_b32_e32 v8, 1
	s_waitcnt vmcnt(0)
	s_waitcnt_vscnt null, 0x0
	buffer_gl1_inv
	buffer_gl0_inv
.LBB4_716:                              ;   in Loop: Header=BB4_668 Depth=2
	s_or_b32 exec_lo, exec_lo, s16
	s_andn2_saveexec_b32 s16, s19
	s_cbranch_execz .LBB4_736
	s_branch .LBB4_718
.LBB4_717:                              ;   in Loop: Header=BB4_668 Depth=2
	s_andn2_saveexec_b32 s16, s19
	s_cbranch_execz .LBB4_736
.LBB4_718:                              ;   in Loop: Header=BB4_668 Depth=2
	s_and_saveexec_b32 s19, s29
	s_xor_b32 s19, exec_lo, s19
	s_cbranch_execz .LBB4_733
; %bb.719:                              ;   in Loop: Header=BB4_668 Depth=2
	s_and_saveexec_b32 s20, s11
	s_cbranch_execz .LBB4_732
; %bb.720:                              ;   in Loop: Header=BB4_668 Depth=2
	s_mov_b32 s23, exec_lo
	s_mov_b32 s21, exec_lo
	v_mbcnt_lo_u32_b32 v8, s23, 0
	;;#ASMSTART
	s_waitcnt lgkmcnt(0) vmcnt(0)
	;;#ASMEND
	v_cmpx_eq_u32_e32 0, v8
	s_cbranch_execz .LBB4_722
; %bb.721:                              ;   in Loop: Header=BB4_668 Depth=2
	s_bcnt1_i32_b32 s23, s23
	v_mov_b32_e32 v9, v2
	v_mov_b32_e32 v8, s23
	s_waitcnt vmcnt(0) lgkmcnt(0)
	s_waitcnt_vscnt null, 0x0
	ds_add_u64 v0, v[8:9]
	s_trap 2
.LBB4_722:                              ;   in Loop: Header=BB4_668 Depth=2
	s_or_b32 exec_lo, exec_lo, s21
	s_trap 2
	ds_read_b64 v[8:9], v0
	s_waitcnt vmcnt(0) lgkmcnt(0)
	buffer_gl0_inv
	v_add_co_u32 v38, vcc_lo, v38, v101
	v_add_co_ci_u32_e64 v39, null, 0, v39, vcc_lo
	s_mov_b32 s21, exec_lo
	v_cmpx_lt_u64_e64 v[8:9], v[38:39]
	s_cbranch_execz .LBB4_731
; %bb.723:                              ;   in Loop: Header=BB4_668 Depth=2
	s_mov_b32 s23, 0
	s_mov_b32 s63, 0
                                        ; implicit-def: $sgpr61
                                        ; implicit-def: $sgpr62
	s_inst_prefetch 0x1
	s_branch .LBB4_725
	.p2align	6
.LBB4_724:                              ;   in Loop: Header=BB4_725 Depth=3
	s_or_b32 exec_lo, exec_lo, s73
	s_and_b32 s72, exec_lo, s74
	s_or_b32 s23, s72, s23
	s_andn2_b32 s61, s61, exec_lo
	s_and_b32 s72, s62, exec_lo
	s_or_b32 s61, s61, s72
	s_andn2_b32 exec_lo, exec_lo, s23
	s_cbranch_execz .LBB4_729
.LBB4_725:                              ;   Parent Loop BB4_47 Depth=1
                                        ;     Parent Loop BB4_668 Depth=2
                                        ; =>    This Inner Loop Header: Depth=3
	s_add_i32 s63, s63, 1
	s_cmpk_lg_i32 s63, 0x2710
	s_cselect_b32 s72, -1, 0
	s_and_b32 vcc_lo, exec_lo, s72
	s_cbranch_vccz .LBB4_727
; %bb.726:                              ;   in Loop: Header=BB4_725 Depth=3
	s_mov_b32 s74, -1
	s_or_b32 s62, s62, exec_lo
	s_and_saveexec_b32 s73, s72
	s_cbranch_execz .LBB4_724
	s_branch .LBB4_728
	.p2align	6
.LBB4_727:                              ;   in Loop: Header=BB4_725 Depth=3
	s_trap 2
	ds_read_b64 v[8:9], v0
	s_andn2_b32 s72, s72, exec_lo
	s_mov_b32 s63, 0
	s_waitcnt lgkmcnt(0)
	s_waitcnt_vscnt null, 0x0
	flat_load_dword v8, v[8:9] glc dlc
	s_waitcnt vmcnt(0) lgkmcnt(0)
	buffer_gl1_inv
	buffer_gl0_inv
	v_cmp_eq_u32_e32 vcc_lo, 0, v8
	s_and_b32 s73, vcc_lo, exec_lo
	s_or_b32 s72, s72, s73
	s_mov_b32 s74, -1
	s_or_b32 s62, s62, exec_lo
	s_and_saveexec_b32 s73, s72
	s_cbranch_execz .LBB4_724
.LBB4_728:                              ;   in Loop: Header=BB4_725 Depth=3
	s_sleep 1
	s_trap 2
	ds_read_b64 v[8:9], v0
	s_waitcnt lgkmcnt(0)
	buffer_gl0_inv
	s_andn2_b32 s62, s62, exec_lo
	v_cmp_ge_u64_e32 vcc_lo, v[8:9], v[38:39]
	s_orn2_b32 s74, vcc_lo, exec_lo
	s_branch .LBB4_724
.LBB4_729:                              ;   in Loop: Header=BB4_668 Depth=2
	s_inst_prefetch 0x2
	s_or_b32 exec_lo, exec_lo, s23
	s_and_saveexec_b32 s23, s61
	s_xor_b32 s23, exec_lo, s23
	s_cbranch_execz .LBB4_731
; %bb.730:                              ;   in Loop: Header=BB4_668 Depth=2
	ds_write_b32 v0, v113
	s_trap 2
.LBB4_731:                              ;   in Loop: Header=BB4_668 Depth=2
	s_or_b32 exec_lo, exec_lo, s21
	;;#ASMSTART
	s_wakeup
	;;#ASMEND
.LBB4_732:                              ;   in Loop: Header=BB4_668 Depth=2
	s_or_b32 exec_lo, exec_lo, s20
.LBB4_733:                              ;   in Loop: Header=BB4_668 Depth=2
	s_andn2_saveexec_b32 s19, s19
	s_cbranch_execz .LBB4_735
; %bb.734:                              ;   in Loop: Header=BB4_668 Depth=2
	;;#ASMSTART
	s_waitcnt lgkmcnt(0) vmcnt(0)
	;;#ASMEND
	s_barrier
.LBB4_735:                              ;   in Loop: Header=BB4_668 Depth=2
	s_or_b32 exec_lo, exec_lo, s19
	v_and_b32_e32 v8, 16, v98
.LBB4_736:                              ;   in Loop: Header=BB4_668 Depth=2
	s_or_b32 exec_lo, exec_lo, s16
	v_cmp_ne_u32_e32 vcc_lo, 0, v8
	s_xor_b32 s16, s7, -1
	s_and_b32 s19, vcc_lo, s16
	s_and_saveexec_b32 s16, s19
	s_cbranch_execz .LBB4_738
; %bb.737:                              ;   in Loop: Header=BB4_668 Depth=2
	s_waitcnt vmcnt(0) lgkmcnt(0)
	s_waitcnt_vscnt null, 0x0
	flat_store_dword v[36:37], v113
.LBB4_738:                              ;   in Loop: Header=BB4_668 Depth=2
	s_or_b32 exec_lo, exec_lo, s16
	v_and_b32_e32 v8, 48, v98
	s_mov_b32 s16, exec_lo
	v_cmpx_ne_u32_e32 0, v8
	s_cbranch_execz .LBB4_667
; %bb.739:                              ;   in Loop: Header=BB4_668 Depth=2
	v_add_co_u32 v64, vcc_lo, v64, 2
	v_add_co_ci_u32_e64 v65, null, 0, v65, vcc_lo
	s_waitcnt vmcnt(0) lgkmcnt(0)
	s_waitcnt_vscnt null, 0x0
	flat_store_dwordx2 v[32:33], v[64:65]
	s_branch .LBB4_667
.LBB4_740:                              ;   in Loop: Header=BB4_47 Depth=1
	s_or_b32 exec_lo, exec_lo, s18
.LBB4_741:                              ;   in Loop: Header=BB4_47 Depth=1
	s_or_b32 exec_lo, exec_lo, s17
	s_andn2_b32 vcc_lo, exec_lo, s46
	s_cbranch_vccnz .LBB4_998
; %bb.742:                              ;   in Loop: Header=BB4_47 Depth=1
	s_mov_b32 s23, 1
.LBB4_743:                              ;   Parent Loop BB4_47 Depth=1
                                        ; =>  This Loop Header: Depth=2
                                        ;       Child Loop BB4_746 Depth 3
                                        ;         Child Loop BB4_754 Depth 4
                                        ;         Child Loop BB4_782 Depth 4
	;; [unrolled: 1-line block ×5, first 2 shown]
                                        ;           Child Loop BB4_834 Depth 5
                                        ;         Child Loop BB4_841 Depth 4
                                        ;         Child Loop BB4_846 Depth 4
                                        ;           Child Loop BB4_847 Depth 5
                                        ;         Child Loop BB4_859 Depth 4
                                        ;         Child Loop BB4_864 Depth 4
	;; [unrolled: 1-line block ×6, first 2 shown]
                                        ;       Child Loop BB4_923 Depth 3
                                        ;         Child Loop BB4_929 Depth 4
                                        ;         Child Loop BB4_957 Depth 4
	;; [unrolled: 1-line block ×3, first 2 shown]
	s_sub_i32 s16, s42, s23
	v_mov_b32_e32 v21, 0
	s_cmp_ge_i32 s16, s25
	s_mov_b32 s62, 0
	s_cselect_b32 s17, s25, 0
	s_sub_i32 s16, s16, s17
	s_ashr_i32 s17, s16, 31
	v_mul_lo_u32 v3, v55, s16
	v_mad_u64_u32 v[8:9], null, v54, s16, 0
	v_mul_lo_u32 v10, v54, s17
	v_add3_u32 v9, v9, v10, v3
	v_sub_co_u32 v10, vcc_lo, v66, v8
	v_sub_co_ci_u32_e64 v11, null, v67, v9, vcc_lo
	v_cmp_lt_i64_e32 vcc_lo, v[54:55], v[10:11]
	v_cndmask_b32_e32 v11, v10, v54, vcc_lo
	v_max_i32_e32 v3, 0, v11
	v_cmp_lt_i32_e32 vcc_lo, 0, v11
	v_add_nc_u32_e32 v10, 31, v3
	s_and_b32 s16, s57, vcc_lo
	v_lshrrev_b32_e32 v10, 1, v10
	v_and_b32_e32 v12, 0x3ffffff0, v10
	v_mov_b32_e32 v10, 0
	v_max_i32_e32 v12, s45, v12
	s_and_saveexec_b32 s61, s16
	s_cbranch_execz .LBB4_920
; %bb.744:                              ;   in Loop: Header=BB4_743 Depth=2
	v_add_co_u32 v22, vcc_lo, v8, v57
	v_add_co_ci_u32_e64 v23, null, v9, v58, vcc_lo
	v_mov_b32_e32 v21, 0
	s_mov_b32 s72, 1
	s_mov_b32 s63, -1
	s_branch .LBB4_746
.LBB4_745:                              ;   in Loop: Header=BB4_746 Depth=3
	s_or_b32 exec_lo, exec_lo, s16
	v_add_nc_u32_e32 v21, v12, v21
	s_xor_b32 s16, s63, -1
	v_mov_b32_e32 v10, s72
	s_mov_b32 s63, 0
	s_mov_b32 s72, 2
	v_cmp_ge_i32_e32 vcc_lo, v21, v3
	s_or_b32 s16, s16, vcc_lo
	s_and_b32 s16, exec_lo, s16
	s_or_b32 s62, s16, s62
	s_andn2_b32 exec_lo, exec_lo, s62
	s_cbranch_execz .LBB4_919
.LBB4_746:                              ;   Parent Loop BB4_47 Depth=1
                                        ;     Parent Loop BB4_743 Depth=2
                                        ; =>    This Loop Header: Depth=3
                                        ;         Child Loop BB4_754 Depth 4
                                        ;         Child Loop BB4_782 Depth 4
	;; [unrolled: 1-line block ×5, first 2 shown]
                                        ;           Child Loop BB4_834 Depth 5
                                        ;         Child Loop BB4_841 Depth 4
                                        ;         Child Loop BB4_846 Depth 4
                                        ;           Child Loop BB4_847 Depth 5
                                        ;         Child Loop BB4_859 Depth 4
                                        ;         Child Loop BB4_864 Depth 4
	;; [unrolled: 1-line block ×6, first 2 shown]
	s_and_saveexec_b32 s17, s4
	s_cbranch_execz .LBB4_748
; %bb.747:                              ;   in Loop: Header=BB4_746 Depth=3
	s_trap 2
	ds_read_b128 v[8:11], v0
	v_ashrrev_i32_e32 v13, 31, v21
	s_waitcnt lgkmcnt(0)
	v_add_co_u32 v14, vcc_lo, v10, v22
	v_add_co_ci_u32_e64 v15, null, v11, v23, vcc_lo
	v_add_co_u32 v8, vcc_lo, v8, v22
	v_add_co_ci_u32_e64 v9, null, v9, v23, vcc_lo
	;; [unrolled: 2-line block ×3, first 2 shown]
	v_cmp_ne_u64_e32 vcc_lo, 0, v[10:11]
	v_add_co_u32 v8, s16, v8, v21
	v_add_co_ci_u32_e64 v9, null, v9, v13, s16
	v_cndmask_b32_e32 v11, 0, v15, vcc_lo
	v_cndmask_b32_e32 v10, 0, v14, vcc_lo
	ds_write_b64 v0, v[8:9]
	ds_write_b64 v0, v[10:11]
.LBB4_748:                              ;   in Loop: Header=BB4_746 Depth=3
	s_or_b32 exec_lo, exec_lo, s17
	v_sub_nc_u32_e32 v8, v3, v21
	v_and_b32_e32 v9, 12, v98
	s_mov_b32 s17, exec_lo
	v_min_i32_e32 v12, v12, v8
	v_cmpx_ne_u32_e32 0, v9
	s_cbranch_execz .LBB4_774
; %bb.749:                              ;   in Loop: Header=BB4_746 Depth=3
	v_and_b32_e32 v17, 8, v98
	s_mov_b32 s18, exec_lo
	s_waitcnt vmcnt(0) lgkmcnt(1)
	v_add_co_u32 v10, vcc_lo, v48, v17
	v_add_co_ci_u32_e64 v11, null, 0, v49, vcc_lo
	v_add_co_u32 v8, vcc_lo, v64, 2
	v_add_co_ci_u32_e64 v9, null, 0, v65, vcc_lo
	v_cmpx_lt_u64_e64 v[10:11], v[8:9]
	s_cbranch_execz .LBB4_761
; %bb.750:                              ;   in Loop: Header=BB4_746 Depth=3
	v_and_b32_e32 v10, 64, v98
	s_mov_b32 s19, 0
	s_mov_b32 s74, 0
                                        ; implicit-def: $sgpr20
                                        ; implicit-def: $sgpr21
                                        ; implicit-def: $sgpr73
	v_cmp_eq_u32_e32 vcc_lo, 0, v10
	s_branch .LBB4_754
.LBB4_751:                              ;   in Loop: Header=BB4_754 Depth=4
	s_waitcnt vmcnt(0) lgkmcnt(0)
	v_add_co_u32 v13, s16, v48, v17
	v_add_co_ci_u32_e64 v14, null, 0, v49, s16
	s_or_b32 s77, s77, exec_lo
	v_cmp_ge_u64_e64 s16, v[13:14], v[8:9]
	s_orn2_b32 s76, s16, exec_lo
.LBB4_752:                              ;   in Loop: Header=BB4_754 Depth=4
	s_or_b32 exec_lo, exec_lo, s79
	s_andn2_b32 s16, s73, exec_lo
	s_and_b32 s73, s77, exec_lo
	s_andn2_b32 s21, s21, exec_lo
	s_and_b32 s76, s76, exec_lo
	s_or_b32 s73, s16, s73
	s_or_b32 s21, s21, s76
.LBB4_753:                              ;   in Loop: Header=BB4_754 Depth=4
	s_or_b32 exec_lo, exec_lo, s75
	s_and_b32 s16, exec_lo, s21
	s_or_b32 s19, s16, s19
	s_andn2_b32 s16, s20, exec_lo
	s_and_b32 s20, s73, exec_lo
	s_or_b32 s20, s16, s20
	s_andn2_b32 exec_lo, exec_lo, s19
	s_cbranch_execz .LBB4_758
.LBB4_754:                              ;   Parent Loop BB4_47 Depth=1
                                        ;     Parent Loop BB4_743 Depth=2
                                        ;       Parent Loop BB4_746 Depth=3
                                        ; =>      This Inner Loop Header: Depth=4
	s_sleep 1
	s_waitcnt vmcnt(0) lgkmcnt(0)
	flat_load_dwordx2 v[48:49], v[32:33] glc dlc
	s_or_b32 s73, s73, exec_lo
	s_or_b32 s21, s21, exec_lo
                                        ; implicit-def: $vgpr10
	s_and_saveexec_b32 s75, vcc_lo
	s_cbranch_execz .LBB4_753
; %bb.755:                              ;   in Loop: Header=BB4_754 Depth=4
	s_cmpk_lt_i32 s74, 0x270f
	s_mov_b32 s76, -1
	s_cselect_b32 s78, -1, 0
	s_cmpk_gt_i32 s74, 0x270e
	s_cbranch_scc0 .LBB4_757
; %bb.756:                              ;   in Loop: Header=BB4_754 Depth=4
	s_trap 2
	ds_read_b64 v[10:11], v0
	s_andn2_b32 s74, s78, exec_lo
	s_mov_b32 s77, 0
	s_waitcnt vmcnt(0) lgkmcnt(0)
	s_waitcnt_vscnt null, 0x0
	flat_load_dword v10, v[10:11] glc dlc
	s_waitcnt vmcnt(0) lgkmcnt(0)
	buffer_gl1_inv
	buffer_gl0_inv
	v_cmp_eq_u32_e64 s16, 0, v10
	s_and_b32 s16, s16, exec_lo
	s_or_b32 s78, s74, s16
	s_mov_b32 s74, 0
	s_and_saveexec_b32 s79, s78
	s_cbranch_execz .LBB4_752
	s_branch .LBB4_751
.LBB4_757:                              ;   in Loop: Header=BB4_754 Depth=4
	s_add_i32 s74, s74, 1
	s_mov_b32 s77, -1
                                        ; implicit-def: $vgpr10
	s_and_saveexec_b32 s79, s78
	s_cbranch_execz .LBB4_752
	s_branch .LBB4_751
.LBB4_758:                              ;   in Loop: Header=BB4_746 Depth=3
	s_or_b32 exec_lo, exec_lo, s19
	s_xor_b32 s16, s20, -1
	s_and_saveexec_b32 s19, s16
	s_xor_b32 s16, exec_lo, s19
	s_cbranch_execz .LBB4_760
; %bb.759:                              ;   in Loop: Header=BB4_746 Depth=3
	v_or_b32_e32 v98, 64, v98
	s_waitcnt vmcnt(0) lgkmcnt(0)
	s_waitcnt_vscnt null, 0x0
	ds_write_b32 v0, v10
	s_trap 2
.LBB4_760:                              ;   in Loop: Header=BB4_746 Depth=3
	s_or_b32 exec_lo, exec_lo, s16
.LBB4_761:                              ;   in Loop: Header=BB4_746 Depth=3
	s_or_b32 exec_lo, exec_lo, s18
	v_and_b32_e32 v10, 0x108, v98
	;;#ASMSTART
	s_wakeup
	;;#ASMEND
	v_cmp_ne_u32_e32 vcc_lo, 0x108, v10
                                        ; implicit-def: $vgpr10_vgpr11
	s_and_saveexec_b32 s16, vcc_lo
	s_xor_b32 s16, exec_lo, s16
; %bb.762:                              ;   in Loop: Header=BB4_746 Depth=3
	v_and_b32_e32 v10, 7, v64
	v_mov_b32_e32 v11, v2
                                        ; implicit-def: $vgpr64_vgpr65
; %bb.763:                              ;   in Loop: Header=BB4_746 Depth=3
	s_andn2_saveexec_b32 s16, s16
	s_cbranch_execz .LBB4_765
; %bb.764:                              ;   in Loop: Header=BB4_746 Depth=3
	v_and_b32_e32 v10, 7, v64
	v_ashrrev_i32_e32 v13, 31, v12
	v_mov_b32_e32 v11, v2
	v_mad_u64_u32 v[14:15], null, v10, 24, v[6:7]
	flat_store_dwordx2 v[14:15], v[12:13] offset:8
.LBB4_765:                              ;   in Loop: Header=BB4_746 Depth=3
	s_or_b32 exec_lo, exec_lo, s16
	v_and_b32_e32 v13, 0x100, v98
	s_mov_b32 s16, -1
	v_cmp_ne_u32_e32 vcc_lo, 0, v13
                                        ; implicit-def: $vgpr13_vgpr14
	s_and_saveexec_b32 s18, vcc_lo
	s_cbranch_execz .LBB4_769
; %bb.766:                              ;   in Loop: Header=BB4_746 Depth=3
	v_mad_u64_u32 v[15:16], null, v10, 24, v[6:7]
	v_mov_b32_e32 v13, v16
	v_mad_u64_u32 v[13:14], null, v11, 24, v[13:14]
	v_mov_b32_e32 v16, v13
	flat_load_dword v13, v[15:16]
	s_waitcnt vmcnt(0) lgkmcnt(0)
	v_cmp_eq_u32_e64 s16, 1, v13
	v_cmp_ne_u32_e32 vcc_lo, 1, v13
                                        ; implicit-def: $vgpr13_vgpr14
	s_and_saveexec_b32 s19, s16
	s_cbranch_execz .LBB4_768
; %bb.767:                              ;   in Loop: Header=BB4_746 Depth=3
	flat_load_dword v13, v[15:16] offset:4 glc dlc
	s_waitcnt vmcnt(0) lgkmcnt(0)
	v_ashrrev_i32_e32 v14, 31, v13
.LBB4_768:                              ;   in Loop: Header=BB4_746 Depth=3
	s_or_b32 exec_lo, exec_lo, s19
	s_orn2_b32 s16, vcc_lo, exec_lo
.LBB4_769:                              ;   in Loop: Header=BB4_746 Depth=3
	s_or_b32 exec_lo, exec_lo, s18
	s_and_saveexec_b32 s18, s16
; %bb.770:                              ;   in Loop: Header=BB4_746 Depth=3
	v_mul_lo_u32 v11, v11, v99
	v_mul_lo_u32 v15, v10, v100
	v_mad_u64_u32 v[13:14], null, v10, v99, 0
	v_add3_u32 v14, v14, v15, v11
; %bb.771:                              ;   in Loop: Header=BB4_746 Depth=3
	s_or_b32 exec_lo, exec_lo, s18
	v_cmp_eq_u32_e32 vcc_lo, 0, v17
	v_and_b32_e32 v16, 0x2000, v98
	s_mov_b32 s16, exec_lo
	v_cndmask_b32_e32 v15, 0xd0, v115, vcc_lo
	v_add_co_u32 v10, vcc_lo, v34, v13
	v_add_co_ci_u32_e64 v11, null, v35, v14, vcc_lo
	v_add_nc_u32_e32 v13, v0, v15
	ds_write_b64 v13, v[10:11] offset:584
	v_cmpx_ne_u32_e32 0, v16
	s_cbranch_execz .LBB4_773
; %bb.772:                              ;   in Loop: Header=BB4_746 Depth=3
	ds_read_b64 v[10:11], v0 offset:872
	s_waitcnt lgkmcnt(0)
	v_add_co_u32 v10, vcc_lo, v10, 1
	v_add_co_ci_u32_e64 v11, null, 0, v11, vcc_lo
	ds_write_b64 v0, v[10:11] offset:872
.LBB4_773:                              ;   in Loop: Header=BB4_746 Depth=3
	s_or_b32 exec_lo, exec_lo, s16
	v_mov_b32_e32 v65, v9
	v_mov_b32_e32 v64, v8
.LBB4_774:                              ;   in Loop: Header=BB4_746 Depth=3
	s_or_b32 exec_lo, exec_lo, s17
	s_and_saveexec_b32 s16, s6
	s_cbranch_execz .LBB4_793
; %bb.775:                              ;   in Loop: Header=BB4_746 Depth=3
	s_and_saveexec_b32 s17, s29
	s_xor_b32 s17, exec_lo, s17
	s_cbranch_execz .LBB4_790
; %bb.776:                              ;   in Loop: Header=BB4_746 Depth=3
	s_and_saveexec_b32 s18, s11
	s_cbranch_execz .LBB4_789
; %bb.777:                              ;   in Loop: Header=BB4_746 Depth=3
	s_mov_b32 s20, exec_lo
	s_mov_b32 s19, exec_lo
	v_mbcnt_lo_u32_b32 v8, s20, 0
	s_waitcnt vmcnt(0) lgkmcnt(0)
	s_waitcnt_vscnt null, 0x0
	buffer_gl1_inv
	buffer_gl0_inv
	v_cmpx_eq_u32_e32 0, v8
	s_cbranch_execz .LBB4_779
; %bb.778:                              ;   in Loop: Header=BB4_746 Depth=3
	s_bcnt1_i32_b32 s20, s20
	v_mov_b32_e32 v9, v2
	v_mov_b32_e32 v8, s20
	ds_add_u64 v0, v[8:9]
	s_trap 2
.LBB4_779:                              ;   in Loop: Header=BB4_746 Depth=3
	s_or_b32 exec_lo, exec_lo, s19
	s_trap 2
	ds_read_b64 v[8:9], v0
	s_waitcnt lgkmcnt(0)
	buffer_gl0_inv
	v_add_co_u32 v38, vcc_lo, v38, v101
	v_add_co_ci_u32_e64 v39, null, 0, v39, vcc_lo
	s_mov_b32 s19, exec_lo
	v_cmpx_lt_u64_e64 v[8:9], v[38:39]
	s_cbranch_execz .LBB4_788
; %bb.780:                              ;   in Loop: Header=BB4_746 Depth=3
	s_mov_b32 s20, 0
	s_mov_b32 s74, 0
                                        ; implicit-def: $sgpr21
                                        ; implicit-def: $sgpr73
	s_inst_prefetch 0x1
	s_branch .LBB4_782
	.p2align	6
.LBB4_781:                              ;   in Loop: Header=BB4_782 Depth=4
	s_or_b32 exec_lo, exec_lo, s76
	s_and_b32 s75, exec_lo, s77
	s_or_b32 s20, s75, s20
	s_andn2_b32 s21, s21, exec_lo
	s_and_b32 s75, s73, exec_lo
	s_or_b32 s21, s21, s75
	s_andn2_b32 exec_lo, exec_lo, s20
	s_cbranch_execz .LBB4_786
.LBB4_782:                              ;   Parent Loop BB4_47 Depth=1
                                        ;     Parent Loop BB4_743 Depth=2
                                        ;       Parent Loop BB4_746 Depth=3
                                        ; =>      This Inner Loop Header: Depth=4
	s_add_i32 s74, s74, 1
	s_cmpk_lg_i32 s74, 0x2710
	s_cselect_b32 s75, -1, 0
	s_and_b32 vcc_lo, exec_lo, s75
	s_cbranch_vccz .LBB4_784
; %bb.783:                              ;   in Loop: Header=BB4_782 Depth=4
	s_mov_b32 s77, -1
	s_or_b32 s73, s73, exec_lo
	s_and_saveexec_b32 s76, s75
	s_cbranch_execz .LBB4_781
	s_branch .LBB4_785
	.p2align	6
.LBB4_784:                              ;   in Loop: Header=BB4_782 Depth=4
	s_trap 2
	ds_read_b64 v[8:9], v0
	s_andn2_b32 s75, s75, exec_lo
	s_mov_b32 s74, 0
	s_waitcnt lgkmcnt(0)
	flat_load_dword v8, v[8:9] glc dlc
	s_waitcnt vmcnt(0) lgkmcnt(0)
	buffer_gl1_inv
	buffer_gl0_inv
	v_cmp_eq_u32_e32 vcc_lo, 0, v8
	s_and_b32 s76, vcc_lo, exec_lo
	s_or_b32 s75, s75, s76
	s_mov_b32 s77, -1
	s_or_b32 s73, s73, exec_lo
	s_and_saveexec_b32 s76, s75
	s_cbranch_execz .LBB4_781
.LBB4_785:                              ;   in Loop: Header=BB4_782 Depth=4
	s_sleep 1
	s_trap 2
	ds_read_b64 v[8:9], v0
	s_waitcnt lgkmcnt(0)
	buffer_gl0_inv
	s_andn2_b32 s73, s73, exec_lo
	v_cmp_ge_u64_e32 vcc_lo, v[8:9], v[38:39]
	s_orn2_b32 s77, vcc_lo, exec_lo
	s_branch .LBB4_781
.LBB4_786:                              ;   in Loop: Header=BB4_746 Depth=3
	s_inst_prefetch 0x2
	s_or_b32 exec_lo, exec_lo, s20
	s_and_saveexec_b32 s20, s21
	s_xor_b32 s20, exec_lo, s20
	s_cbranch_execz .LBB4_788
; %bb.787:                              ;   in Loop: Header=BB4_746 Depth=3
	ds_write_b32 v0, v113
	s_trap 2
.LBB4_788:                              ;   in Loop: Header=BB4_746 Depth=3
	s_or_b32 exec_lo, exec_lo, s19
	;;#ASMSTART
	s_wakeup
	;;#ASMEND
.LBB4_789:                              ;   in Loop: Header=BB4_746 Depth=3
	s_or_b32 exec_lo, exec_lo, s18
.LBB4_790:                              ;   in Loop: Header=BB4_746 Depth=3
	s_andn2_saveexec_b32 s17, s17
	s_cbranch_execz .LBB4_792
; %bb.791:                              ;   in Loop: Header=BB4_746 Depth=3
	s_waitcnt vmcnt(0) lgkmcnt(0)
	s_waitcnt_vscnt null, 0x0
	buffer_gl1_inv
	buffer_gl0_inv
	s_barrier
.LBB4_792:                              ;   in Loop: Header=BB4_746 Depth=3
	s_or_b32 exec_lo, exec_lo, s17
.LBB4_793:                              ;   in Loop: Header=BB4_746 Depth=3
	s_or_b32 exec_lo, exec_lo, s16
	s_trap 2
	ds_read_b32 v8, v0
	v_and_b32_e32 v9, 0x4000, v98
	s_xor_b32 s16, s5, -1
	v_cmp_ne_u32_e32 vcc_lo, 0, v9
	s_and_b32 s17, s16, vcc_lo
	s_and_saveexec_b32 s16, s17
	s_cbranch_execz .LBB4_812
; %bb.794:                              ;   in Loop: Header=BB4_746 Depth=3
	s_and_saveexec_b32 s17, s29
	s_xor_b32 s17, exec_lo, s17
	s_cbranch_execz .LBB4_809
; %bb.795:                              ;   in Loop: Header=BB4_746 Depth=3
	s_and_saveexec_b32 s18, s11
	s_cbranch_execz .LBB4_808
; %bb.796:                              ;   in Loop: Header=BB4_746 Depth=3
	s_mov_b32 s20, exec_lo
	s_mov_b32 s19, exec_lo
	v_mbcnt_lo_u32_b32 v9, s20, 0
	s_waitcnt vmcnt(0) lgkmcnt(0)
	s_waitcnt_vscnt null, 0x0
	buffer_gl1_inv
	buffer_gl0_inv
	v_cmpx_eq_u32_e32 0, v9
	s_cbranch_execz .LBB4_798
; %bb.797:                              ;   in Loop: Header=BB4_746 Depth=3
	s_bcnt1_i32_b32 s20, s20
	v_mov_b32_e32 v10, v2
	v_mov_b32_e32 v9, s20
	ds_add_u64 v0, v[9:10]
	s_trap 2
.LBB4_798:                              ;   in Loop: Header=BB4_746 Depth=3
	s_or_b32 exec_lo, exec_lo, s19
	s_trap 2
	ds_read_b64 v[9:10], v0
	s_waitcnt lgkmcnt(0)
	buffer_gl0_inv
	v_add_co_u32 v38, vcc_lo, v38, v101
	v_add_co_ci_u32_e64 v39, null, 0, v39, vcc_lo
	s_mov_b32 s19, exec_lo
	v_cmpx_lt_u64_e64 v[9:10], v[38:39]
	s_cbranch_execz .LBB4_807
; %bb.799:                              ;   in Loop: Header=BB4_746 Depth=3
	s_mov_b32 s20, 0
	s_mov_b32 s74, 0
                                        ; implicit-def: $sgpr21
                                        ; implicit-def: $sgpr73
	s_inst_prefetch 0x1
	s_branch .LBB4_801
	.p2align	6
.LBB4_800:                              ;   in Loop: Header=BB4_801 Depth=4
	s_or_b32 exec_lo, exec_lo, s76
	s_and_b32 s75, exec_lo, s77
	s_or_b32 s20, s75, s20
	s_andn2_b32 s21, s21, exec_lo
	s_and_b32 s75, s73, exec_lo
	s_or_b32 s21, s21, s75
	s_andn2_b32 exec_lo, exec_lo, s20
	s_cbranch_execz .LBB4_805
.LBB4_801:                              ;   Parent Loop BB4_47 Depth=1
                                        ;     Parent Loop BB4_743 Depth=2
                                        ;       Parent Loop BB4_746 Depth=3
                                        ; =>      This Inner Loop Header: Depth=4
	s_add_i32 s74, s74, 1
	s_cmpk_lg_i32 s74, 0x2710
	s_cselect_b32 s75, -1, 0
	s_and_b32 vcc_lo, exec_lo, s75
	s_cbranch_vccz .LBB4_803
; %bb.802:                              ;   in Loop: Header=BB4_801 Depth=4
	s_mov_b32 s77, -1
	s_or_b32 s73, s73, exec_lo
	s_and_saveexec_b32 s76, s75
	s_cbranch_execz .LBB4_800
	s_branch .LBB4_804
	.p2align	6
.LBB4_803:                              ;   in Loop: Header=BB4_801 Depth=4
	s_trap 2
	ds_read_b64 v[9:10], v0
	s_andn2_b32 s75, s75, exec_lo
	s_mov_b32 s74, 0
	s_waitcnt lgkmcnt(0)
	flat_load_dword v9, v[9:10] glc dlc
	s_waitcnt vmcnt(0) lgkmcnt(0)
	buffer_gl1_inv
	buffer_gl0_inv
	v_cmp_eq_u32_e32 vcc_lo, 0, v9
	s_and_b32 s76, vcc_lo, exec_lo
	s_or_b32 s75, s75, s76
	s_mov_b32 s77, -1
	s_or_b32 s73, s73, exec_lo
	s_and_saveexec_b32 s76, s75
	s_cbranch_execz .LBB4_800
.LBB4_804:                              ;   in Loop: Header=BB4_801 Depth=4
	s_sleep 1
	s_trap 2
	ds_read_b64 v[9:10], v0
	s_waitcnt lgkmcnt(0)
	buffer_gl0_inv
	s_andn2_b32 s73, s73, exec_lo
	v_cmp_ge_u64_e32 vcc_lo, v[9:10], v[38:39]
	s_orn2_b32 s77, vcc_lo, exec_lo
	s_branch .LBB4_800
.LBB4_805:                              ;   in Loop: Header=BB4_746 Depth=3
	s_inst_prefetch 0x2
	s_or_b32 exec_lo, exec_lo, s20
	s_and_saveexec_b32 s20, s21
	s_xor_b32 s20, exec_lo, s20
	s_cbranch_execz .LBB4_807
; %bb.806:                              ;   in Loop: Header=BB4_746 Depth=3
	ds_write_b32 v0, v113
	s_trap 2
.LBB4_807:                              ;   in Loop: Header=BB4_746 Depth=3
	s_or_b32 exec_lo, exec_lo, s19
	;;#ASMSTART
	s_wakeup
	;;#ASMEND
.LBB4_808:                              ;   in Loop: Header=BB4_746 Depth=3
	s_or_b32 exec_lo, exec_lo, s18
.LBB4_809:                              ;   in Loop: Header=BB4_746 Depth=3
	s_andn2_saveexec_b32 s17, s17
	s_cbranch_execz .LBB4_811
; %bb.810:                              ;   in Loop: Header=BB4_746 Depth=3
	s_waitcnt vmcnt(0) lgkmcnt(0)
	s_waitcnt_vscnt null, 0x0
	buffer_gl1_inv
	buffer_gl0_inv
	s_barrier
.LBB4_811:                              ;   in Loop: Header=BB4_746 Depth=3
	s_or_b32 exec_lo, exec_lo, s17
.LBB4_812:                              ;   in Loop: Header=BB4_746 Depth=3
	s_or_b32 exec_lo, exec_lo, s16
	s_trap 2
	ds_read_b64 v[13:14], v0
	s_waitcnt lgkmcnt(0)
	v_cmp_eq_u64_e32 vcc_lo, 0, v[13:14]
	s_cbranch_vccnz .LBB4_821
; %bb.813:                              ;   in Loop: Header=BB4_746 Depth=3
	s_trap 2
	ds_read_b64 v[15:16], v0
	s_waitcnt lgkmcnt(0)
	v_cmp_eq_u64_e32 vcc_lo, 0, v[15:16]
	s_cbranch_vccnz .LBB4_821
; %bb.814:                              ;   in Loop: Header=BB4_746 Depth=3
	s_trap 2
	ds_read_b64 v[17:18], v0
	v_cmp_eq_u32_e64 s16, 0, v8
	v_cndmask_b32_e64 v68, 0, v12, s16
	s_mov_b32 s16, -1
	s_waitcnt lgkmcnt(0)
	v_cmp_ne_u64_e32 vcc_lo, 0, v[17:18]
	s_cbranch_vccz .LBB4_850
; %bb.815:                              ;   in Loop: Header=BB4_746 Depth=3
	s_and_saveexec_b32 s17, s13
	s_cbranch_execz .LBB4_817
; %bb.816:                              ;   in Loop: Header=BB4_746 Depth=3
	ds_read_b32 v8, v0 offset:720
	s_waitcnt lgkmcnt(0)
	v_and_b32_e32 v8, 15, v8
	v_cmp_eq_u32_e32 vcc_lo, 0, v8
	s_orn2_b32 s16, vcc_lo, exec_lo
.LBB4_817:                              ;   in Loop: Header=BB4_746 Depth=3
	s_or_b32 exec_lo, exec_lo, s17
	s_and_saveexec_b32 s17, s14
	s_cbranch_execz .LBB4_819
; %bb.818:                              ;   in Loop: Header=BB4_746 Depth=3
	ds_read_b32 v8, v0 offset:784
	s_waitcnt lgkmcnt(0)
	v_and_b32_e32 v8, 15, v8
	v_cmp_eq_u32_e32 vcc_lo, 0, v8
	s_and_b32 s18, s16, vcc_lo
	s_andn2_b32 s16, s16, exec_lo
	s_and_b32 s18, s18, exec_lo
	s_or_b32 s16, s16, s18
.LBB4_819:                              ;   in Loop: Header=BB4_746 Depth=3
	s_or_b32 exec_lo, exec_lo, s17
	s_xor_b32 s16, s16, -1
	v_mov_b32_e32 v19, 0
	v_cndmask_b32_e64 v8, 0, 1, s16
	v_mov_b32_e32 v20, v68
	v_mov_b32_e32 v69, v0
	s_mov_b32 s16, -1
	v_cmp_ne_u32_e32 vcc_lo, 0, v8
	s_cbranch_vccz .LBB4_826
; %bb.820:                              ;   in Loop: Header=BB4_746 Depth=3
	s_and_saveexec_b32 s20, s16
	s_cbranch_execnz .LBB4_839
	s_branch .LBB4_849
.LBB4_821:                              ;   in Loop: Header=BB4_746 Depth=3
	s_mov_b32 s16, 0
	s_and_saveexec_b32 s17, s6
	s_cbranch_execnz .LBB4_878
.LBB4_822:                              ;   in Loop: Header=BB4_746 Depth=3
	s_or_b32 exec_lo, exec_lo, s17
                                        ; implicit-def: $vgpr8
	s_and_saveexec_b32 s17, s15
	s_xor_b32 s17, exec_lo, s17
	s_cbranch_execz .LBB4_896
.LBB4_823:                              ;   in Loop: Header=BB4_746 Depth=3
	v_and_b32_e32 v8, 16, v98
	v_cmp_ne_u32_e32 vcc_lo, 0, v8
	v_and_b32_e32 v8, 16, v98
	s_and_b32 s18, vcc_lo, s16
	s_and_saveexec_b32 s16, s18
	s_cbranch_execz .LBB4_825
; %bb.824:                              ;   in Loop: Header=BB4_746 Depth=3
	v_mov_b32_e32 v8, 1
	s_waitcnt vmcnt(0) lgkmcnt(0)
	s_waitcnt_vscnt null, 0x0
	buffer_gl1_inv
	buffer_gl0_inv
.LBB4_825:                              ;   in Loop: Header=BB4_746 Depth=3
	s_or_b32 exec_lo, exec_lo, s16
	s_andn2_saveexec_b32 s16, s17
	s_cbranch_execz .LBB4_915
	s_branch .LBB4_897
.LBB4_826:                              ;   in Loop: Header=BB4_746 Depth=3
	v_ashrrev_i32_e32 v8, 31, v68
	s_mov_b32 s17, exec_lo
	v_lshrrev_b32_e32 v8, 22, v8
	v_add_nc_u32_e32 v8, v68, v8
	v_ashrrev_i32_e32 v69, 10, v8
	v_sub_nc_u32_e32 v71, v69, v103
	v_cmpx_lt_i32_e32 0, v71
	s_cbranch_execz .LBB4_830
; %bb.827:                              ;   in Loop: Header=BB4_746 Depth=3
	v_add_co_u32 v8, vcc_lo, v13, v40
	v_add_co_ci_u32_e64 v9, null, 0, v14, vcc_lo
	v_add_co_u32 v10, vcc_lo, v15, v40
	v_add_co_ci_u32_e64 v11, null, 0, v16, vcc_lo
	;; [unrolled: 2-line block ×3, first 2 shown]
	s_mov_b32 s18, 0
	.p2align	6
.LBB4_828:                              ;   Parent Loop BB4_47 Depth=1
                                        ;     Parent Loop BB4_743 Depth=2
                                        ;       Parent Loop BB4_746 Depth=3
                                        ; =>      This Inner Loop Header: Depth=4
	s_clause 0x1
	global_load_dwordx4 v[80:83], v[8:9], off slc
	global_load_dwordx4 v[84:87], v[8:9], off offset:512 slc
	v_sub_nc_u32_e32 v71, v71, v101
	v_add_co_u32 v8, vcc_lo, v8, v118
	v_add_co_ci_u32_e64 v9, null, 0, v9, vcc_lo
	v_cmp_gt_i32_e32 vcc_lo, 1, v71
	s_waitcnt vmcnt(1)
	global_store_dwordx4 v[10:11], v[80:83], off glc slc
	s_waitcnt vmcnt(0)
	global_store_dwordx4 v[10:11], v[84:87], off offset:512 glc slc
	global_store_dwordx4 v[19:20], v[80:83], off glc slc
	global_store_dwordx4 v[19:20], v[84:87], off offset:512 glc slc
	v_add_co_u32 v10, s16, v10, v118
	v_add_co_ci_u32_e64 v11, null, 0, v11, s16
	v_add_co_u32 v19, s16, v19, v118
	v_add_co_ci_u32_e64 v20, null, 0, v20, s16
	s_or_b32 s18, vcc_lo, s18
	s_andn2_b32 exec_lo, exec_lo, s18
	s_cbranch_execnz .LBB4_828
; %bb.829:                              ;   in Loop: Header=BB4_746 Depth=3
	s_or_b32 exec_lo, exec_lo, s18
.LBB4_830:                              ;   in Loop: Header=BB4_746 Depth=3
	s_or_b32 exec_lo, exec_lo, s17
	v_lshlrev_b32_e32 v70, 10, v69
	v_mov_b32_e32 v19, 0
	s_mov_b32 s16, 0
	s_mov_b32 s19, exec_lo
                                        ; implicit-def: $vgpr20
                                        ; implicit-def: $vgpr69
	v_cmpx_ne_u32_e64 v68, v70
	s_cbranch_execz .LBB4_838
; %bb.831:                              ;   in Loop: Header=BB4_746 Depth=3
	v_lshlrev_b32_e32 v8, 5, v71
	v_sub_nc_u32_e32 v10, v68, v70
	s_mov_b32 s73, exec_lo
	v_sub_nc_u32_e32 v8, v102, v8
	v_ashrrev_i32_e32 v11, 31, v10
	v_ashrrev_i32_e32 v9, 31, v8
	v_lshrrev_b32_e32 v11, 23, v11
	v_lshrrev_b32_e32 v9, 27, v9
	v_add_nc_u32_e32 v11, v10, v11
	v_add_nc_u32_e32 v9, v8, v9
	v_and_b32_e32 v71, 0xfffffe00, v11
	v_ashrrev_i32_e32 v11, 9, v11
	v_and_b32_e32 v19, 0xffffffe0, v9
	v_sub_nc_u32_e32 v80, v10, v71
	v_ashrrev_i32_e32 v9, 5, v9
	v_sub_nc_u32_e32 v69, v8, v19
	v_cmp_lt_i32_e64 s16, 15, v80
	v_lshlrev_b32_e32 v8, 4, v69
	v_add_co_ci_u32_e64 v11, null, 0, v11, s16
	v_lshl_add_u32 v8, v9, 9, v8
	v_sub_nc_u32_e32 v81, v11, v9
	v_sub_nc_u32_e32 v82, v10, v8
	v_cmpx_lt_i32_e32 15, v82
	s_cbranch_execz .LBB4_837
; %bb.832:                              ;   in Loop: Header=BB4_746 Depth=3
	v_add_nc_u32_e32 v8, v8, v70
	s_mov_b32 s74, 0
	v_ashrrev_i32_e32 v9, 31, v8
	v_add_co_u32 v19, vcc_lo, v8, v13
	v_add_co_ci_u32_e64 v20, null, v9, v14, vcc_lo
	v_add_co_u32 v83, vcc_lo, v8, v15
	v_add_co_ci_u32_e64 v84, null, v9, v16, vcc_lo
	;; [unrolled: 2-line block ×3, first 2 shown]
	s_inst_prefetch 0x1
	.p2align	6
.LBB4_833:                              ;   Parent Loop BB4_47 Depth=1
                                        ;     Parent Loop BB4_743 Depth=2
                                        ;       Parent Loop BB4_746 Depth=3
                                        ; =>      This Loop Header: Depth=4
                                        ;           Child Loop BB4_834 Depth 5
	global_load_dwordx4 v[8:11], v[19:20], off slc
	s_mov_b64 s[20:21], 0
	s_mov_b32 s75, -1
	.p2align	6
.LBB4_834:                              ;   Parent Loop BB4_47 Depth=1
                                        ;     Parent Loop BB4_743 Depth=2
                                        ;       Parent Loop BB4_746 Depth=3
                                        ;         Parent Loop BB4_833 Depth=4
                                        ; =>        This Inner Loop Header: Depth=5
	s_cmp_eq_u32 s20, 1
	s_cselect_b32 vcc_lo, -1, 0
	s_cmp_eq_u32 s20, 0
	v_cndmask_b32_e32 v96, v83, v85, vcc_lo
	v_cndmask_b32_e32 v97, v84, v86, vcc_lo
	s_mov_b64 s[20:21], 1
	v_add_co_u32 v87, s17, 0x200, v96
	v_add_co_ci_u32_e64 v59, null, 0, v97, s17
	s_cselect_b32 s17, -1, 0
	v_cndmask_b32_e32 v85, v85, v87, vcc_lo
	v_cndmask_b32_e64 v83, v83, v87, s17
	v_cndmask_b32_e32 v86, v86, v59, vcc_lo
	v_cndmask_b32_e64 v84, v84, v59, s17
	s_and_b32 s18, exec_lo, s75
	s_mov_b32 s75, 0
	s_mov_b32 vcc_lo, s18
	s_waitcnt vmcnt(0)
	global_store_dwordx4 v[96:97], v[8:11], off glc slc
	s_cbranch_vccnz .LBB4_834
; %bb.835:                              ;   in Loop: Header=BB4_833 Depth=4
	v_sub_nc_u32_e32 v82, v82, v117
	v_add_co_u32 v83, vcc_lo, v83, v41
	v_add_co_ci_u32_e64 v84, null, v84, v44, vcc_lo
	v_add_co_u32 v85, vcc_lo, v85, v41
	v_add_co_ci_u32_e64 v86, null, v86, v44, vcc_lo
	v_cmp_gt_i32_e32 vcc_lo, 16, v82
	v_add_co_u32 v19, s17, v47, v19
	v_add_co_ci_u32_e64 v20, null, v56, v20, s17
	v_sub_nc_u32_e32 v81, v81, v101
	s_or_b32 s74, vcc_lo, s74
	s_andn2_b32 exec_lo, exec_lo, s74
	s_cbranch_execnz .LBB4_833
; %bb.836:                              ;   in Loop: Header=BB4_746 Depth=3
	s_inst_prefetch 0x2
	s_or_b32 exec_lo, exec_lo, s74
.LBB4_837:                              ;   in Loop: Header=BB4_746 Depth=3
	s_or_b32 exec_lo, exec_lo, s73
	v_and_b32_e32 v8, 15, v68
	v_cmp_lt_i32_e32 vcc_lo, 0, v81
	v_sub_nc_u32_e32 v9, v80, v8
	v_cndmask_b32_e32 v10, 0, v101, vcc_lo
	v_cndmask_b32_e64 v20, v80, v8, s16
	v_cndmask_b32_e64 v8, 0, v9, s16
	v_sub_nc_u32_e32 v9, v10, v81
	v_cmp_ne_u32_e32 vcc_lo, 0, v20
	v_add3_u32 v19, v71, v70, v8
	v_lshl_add_u32 v69, v9, 5, v69
	s_and_b32 s16, vcc_lo, exec_lo
.LBB4_838:                              ;   in Loop: Header=BB4_746 Depth=3
	s_or_b32 exec_lo, exec_lo, s19
	s_and_saveexec_b32 s20, s16
	s_cbranch_execz .LBB4_849
.LBB4_839:                              ;   in Loop: Header=BB4_746 Depth=3
	v_ashrrev_i32_e32 v8, 31, v69
	v_ashrrev_i32_e32 v9, 31, v20
	s_mov_b32 s17, exec_lo
	v_lshrrev_b32_e32 v8, 27, v8
	v_lshrrev_b32_e32 v9, 23, v9
	v_add_nc_u32_e32 v8, v69, v8
	v_add_nc_u32_e32 v9, v20, v9
	v_ashrrev_i32_e32 v70, 5, v8
	v_ashrrev_i32_e32 v80, 9, v9
	v_sub_nc_u32_e32 v71, v80, v70
	v_cmpx_lt_i32_e32 0, v71
	s_cbranch_execz .LBB4_843
; %bb.840:                              ;   in Loop: Header=BB4_746 Depth=3
	v_and_b32_e32 v8, 0xffffffe0, v8
	v_lshlrev_b32_e32 v9, 9, v70
	v_add_co_u32 v83, vcc_lo, 0x1e0, v13
	v_add_co_ci_u32_e64 v84, null, 0, v14, vcc_lo
	v_sub_nc_u32_e32 v8, v69, v8
	s_mov_b32 s18, 0
	v_add3_u32 v81, v19, v8, v9
	v_ashrrev_i32_e32 v82, 31, v81
	v_add_co_u32 v8, vcc_lo, v81, v15
	v_add_co_ci_u32_e64 v9, null, v82, v16, vcc_lo
	v_add_co_u32 v10, vcc_lo, v81, v17
	v_add_co_ci_u32_e64 v11, null, v82, v18, vcc_lo
	v_add_co_u32 v17, vcc_lo, v83, v81
	v_add_co_ci_u32_e64 v18, null, v84, v82, vcc_lo
.LBB4_841:                              ;   Parent Loop BB4_47 Depth=1
                                        ;     Parent Loop BB4_743 Depth=2
                                        ;       Parent Loop BB4_746 Depth=3
                                        ; =>      This Inner Loop Header: Depth=4
	v_add_co_u32 v81, vcc_lo, 0xfffffe20, v17
	v_add_co_ci_u32_e64 v82, null, -1, v18, vcc_lo
	v_add_co_u32 v83, vcc_lo, 0xfffffe40, v17
	v_add_co_ci_u32_e64 v84, null, -1, v18, vcc_lo
	;; [unrolled: 2-line block ×15, first 2 shown]
	flat_load_ubyte v63, v[17:18] slc
	flat_load_ubyte v81, v[81:82] slc
	;; [unrolled: 1-line block ×16, first 2 shown]
	v_sub_nc_u32_e32 v71, v71, v101
	v_add_co_u32 v17, vcc_lo, v17, v117
	v_add_co_ci_u32_e64 v18, null, 0, v18, vcc_lo
	v_cmp_gt_i32_e32 vcc_lo, 1, v71
	s_waitcnt vmcnt(15) lgkmcnt(15)
	flat_store_byte v[8:9], v63 offset:480 glc slc
	s_waitcnt vmcnt(14) lgkmcnt(15)
	flat_store_byte v[8:9], v81 glc slc
	s_waitcnt vmcnt(13) lgkmcnt(15)
	flat_store_byte v[8:9], v82 offset:32 glc slc
	s_waitcnt vmcnt(12) lgkmcnt(15)
	flat_store_byte v[8:9], v83 offset:64 glc slc
	;; [unrolled: 2-line block ×14, first 2 shown]
	flat_store_byte v[10:11], v81 glc slc
	flat_store_byte v[10:11], v82 offset:32 glc slc
	flat_store_byte v[10:11], v83 offset:64 glc slc
	;; [unrolled: 1-line block ×15, first 2 shown]
	v_add_co_u32 v8, s16, v8, v117
	v_add_co_ci_u32_e64 v9, null, 0, v9, s16
	v_add_co_u32 v10, s16, v10, v117
	v_add_co_ci_u32_e64 v11, null, 0, v11, s16
	s_or_b32 s18, vcc_lo, s18
	s_andn2_b32 exec_lo, exec_lo, s18
	s_cbranch_execnz .LBB4_841
; %bb.842:                              ;   in Loop: Header=BB4_746 Depth=3
	s_or_b32 exec_lo, exec_lo, s18
.LBB4_843:                              ;   in Loop: Header=BB4_746 Depth=3
	s_or_b32 exec_lo, exec_lo, s17
	v_lshlrev_b32_e32 v8, 9, v80
	v_cmp_ne_u32_e32 vcc_lo, v20, v8
	s_and_b32 exec_lo, exec_lo, vcc_lo
	s_cbranch_execz .LBB4_849
; %bb.844:                              ;   in Loop: Header=BB4_746 Depth=3
	v_lshlrev_b32_e32 v9, 5, v70
	v_lshlrev_b32_e32 v10, 5, v71
	v_sub_nc_u32_e32 v9, v69, v9
	v_sub_nc_u32_e32 v9, v9, v10
	v_add_nc_u32_e32 v8, v8, v9
	v_sub_nc_u32_e32 v10, v20, v8
	v_cmp_lt_i32_e32 vcc_lo, 0, v10
	s_and_b32 exec_lo, exec_lo, vcc_lo
	s_cbranch_execz .LBB4_849
; %bb.845:                              ;   in Loop: Header=BB4_746 Depth=3
	s_trap 2
	ds_read_b64 v[17:18], v0
	ds_read_b128 v[80:83], v0
	v_add_nc_u32_e32 v19, v8, v19
	s_mov_b32 s21, 0
	v_ashrrev_i32_e32 v20, 31, v19
	s_waitcnt lgkmcnt(1)
	v_add_co_u32 v8, vcc_lo, v17, v19
	v_add_co_ci_u32_e64 v9, null, v18, v20, vcc_lo
	s_waitcnt lgkmcnt(0)
	v_add_co_u32 v11, vcc_lo, v80, v19
	v_add_co_ci_u32_e64 v17, null, v81, v20, vcc_lo
	v_add_co_u32 v18, vcc_lo, v82, v19
	v_add_co_ci_u32_e64 v19, null, v83, v20, vcc_lo
	s_inst_prefetch 0x1
	.p2align	6
.LBB4_846:                              ;   Parent Loop BB4_47 Depth=1
                                        ;     Parent Loop BB4_743 Depth=2
                                        ;       Parent Loop BB4_746 Depth=3
                                        ; =>      This Loop Header: Depth=4
                                        ;           Child Loop BB4_847 Depth 5
	flat_load_ubyte v20, v[8:9] slc
	s_mov_b64 s[18:19], 0
	s_mov_b32 s73, -1
	.p2align	6
.LBB4_847:                              ;   Parent Loop BB4_47 Depth=1
                                        ;     Parent Loop BB4_743 Depth=2
                                        ;       Parent Loop BB4_746 Depth=3
                                        ;         Parent Loop BB4_846 Depth=4
                                        ; =>        This Inner Loop Header: Depth=5
	s_cmp_eq_u32 s18, 1
	s_cselect_b32 vcc_lo, -1, 0
	s_cmp_eq_u32 s18, 0
	v_cndmask_b32_e32 v69, v11, v18, vcc_lo
	v_cndmask_b32_e32 v70, v17, v19, vcc_lo
	s_mov_b64 s[18:19], 1
	v_add_co_u32 v71, s16, v69, 32
	v_add_co_ci_u32_e64 v80, null, 0, v70, s16
	s_cselect_b32 s16, -1, 0
	v_cndmask_b32_e32 v18, v18, v71, vcc_lo
	v_cndmask_b32_e64 v11, v11, v71, s16
	v_cndmask_b32_e32 v19, v19, v80, vcc_lo
	v_cndmask_b32_e64 v17, v17, v80, s16
	s_and_b32 s17, exec_lo, s73
	s_mov_b32 s73, 0
	s_mov_b32 vcc_lo, s17
	s_waitcnt vmcnt(0) lgkmcnt(0)
	flat_store_byte v[69:70], v20 glc slc
	s_cbranch_vccnz .LBB4_847
; %bb.848:                              ;   in Loop: Header=BB4_846 Depth=4
	v_sub_nc_u32_e32 v10, v10, v112
	v_add_co_u32 v11, vcc_lo, v11, v119
	v_add_co_ci_u32_e64 v17, null, v17, v42, vcc_lo
	v_add_co_u32 v18, vcc_lo, v18, v119
	v_add_co_ci_u32_e64 v19, null, v19, v42, vcc_lo
	v_cmp_gt_i32_e32 vcc_lo, 1, v10
	v_add_co_u32 v8, s16, v45, v8
	v_add_co_ci_u32_e64 v9, null, v46, v9, s16
	s_or_b32 s21, vcc_lo, s21
	s_andn2_b32 exec_lo, exec_lo, s21
	s_cbranch_execnz .LBB4_846
.LBB4_849:                              ;   in Loop: Header=BB4_746 Depth=3
	s_inst_prefetch 0x2
	s_or_b32 exec_lo, exec_lo, s20
	s_mov_b32 s16, 0
.LBB4_850:                              ;   in Loop: Header=BB4_746 Depth=3
	s_and_b32 vcc_lo, exec_lo, s16
	s_cbranch_vccz .LBB4_877
; %bb.851:                              ;   in Loop: Header=BB4_746 Depth=3
	s_mov_b32 s16, -1
	s_and_saveexec_b32 s17, s13
	s_cbranch_execz .LBB4_853
; %bb.852:                              ;   in Loop: Header=BB4_746 Depth=3
	ds_read_b32 v8, v0 offset:720
	s_waitcnt lgkmcnt(0)
	v_and_b32_e32 v8, 15, v8
	v_cmp_eq_u32_e32 vcc_lo, 0, v8
	s_orn2_b32 s16, vcc_lo, exec_lo
.LBB4_853:                              ;   in Loop: Header=BB4_746 Depth=3
	s_or_b32 exec_lo, exec_lo, s17
	s_and_saveexec_b32 s17, s12
	s_cbranch_execz .LBB4_855
; %bb.854:                              ;   in Loop: Header=BB4_746 Depth=3
	ds_read_b32 v8, v0 offset:784
	s_waitcnt lgkmcnt(0)
	v_and_b32_e32 v8, 15, v8
	v_cmp_eq_u32_e32 vcc_lo, 0, v8
	s_and_b32 s18, s16, vcc_lo
	s_andn2_b32 s16, s16, exec_lo
	s_and_b32 s18, s18, exec_lo
	s_or_b32 s16, s16, s18
.LBB4_855:                              ;   in Loop: Header=BB4_746 Depth=3
	s_or_b32 exec_lo, exec_lo, s17
	s_xor_b32 s16, s16, -1
	v_mov_b32_e32 v10, 0
	v_cndmask_b32_e64 v8, 0, 1, s16
	v_mov_b32_e32 v9, v0
	s_mov_b32 s16, -1
	v_cmp_ne_u32_e32 vcc_lo, 0, v8
	v_mov_b32_e32 v8, v68
	s_cbranch_vccz .LBB4_857
; %bb.856:                              ;   in Loop: Header=BB4_746 Depth=3
	s_and_saveexec_b32 s17, s16
	s_cbranch_execnz .LBB4_868
	s_branch .LBB4_876
.LBB4_857:                              ;   in Loop: Header=BB4_746 Depth=3
	v_ashrrev_i32_e32 v8, 31, v68
	s_mov_b32 s17, exec_lo
	v_lshrrev_b32_e32 v8, 21, v8
	v_add_nc_u32_e32 v8, v68, v8
	v_ashrrev_i32_e32 v18, 11, v8
	v_sub_nc_u32_e32 v17, v18, v103
	v_cmpx_lt_i32_e32 0, v17
	s_cbranch_execz .LBB4_861
; %bb.858:                              ;   in Loop: Header=BB4_746 Depth=3
	v_mov_b32_e32 v8, v15
	v_mov_b32_e32 v10, v13
	;; [unrolled: 1-line block ×4, first 2 shown]
	s_mov_b32 s18, 0
	s_inst_prefetch 0x1
	.p2align	6
.LBB4_859:                              ;   Parent Loop BB4_47 Depth=1
                                        ;     Parent Loop BB4_743 Depth=2
                                        ;       Parent Loop BB4_746 Depth=3
                                        ; =>      This Inner Loop Header: Depth=4
	v_add_co_u32 v19, vcc_lo, v43, v10
	v_add_co_ci_u32_e64 v20, null, 0, v11, vcc_lo
	v_sub_nc_u32_e32 v17, v17, v101
	s_clause 0x3
	global_load_dwordx4 v[80:83], v[19:20], off slc
	global_load_dwordx4 v[84:87], v[19:20], off offset:512 slc
	global_load_dwordx4 v[59:62], v[19:20], off offset:1024 slc
	;; [unrolled: 1-line block ×3, first 2 shown]
	v_add_co_u32 v19, vcc_lo, v43, v8
	v_add_co_ci_u32_e64 v20, null, 0, v9, vcc_lo
	v_add_co_u32 v10, vcc_lo, v10, v116
	v_add_co_ci_u32_e64 v11, null, 0, v11, vcc_lo
	v_add_co_u32 v8, vcc_lo, v8, v116
	v_cmp_gt_i32_e64 s16, 1, v17
	v_add_co_ci_u32_e64 v9, null, 0, v9, vcc_lo
	s_waitcnt vmcnt(3)
	global_store_dwordx4 v[19:20], v[80:83], off glc slc
	s_waitcnt vmcnt(2)
	global_store_dwordx4 v[19:20], v[84:87], off offset:512 glc slc
	s_waitcnt vmcnt(1)
	global_store_dwordx4 v[19:20], v[59:62], off offset:1024 glc slc
	;; [unrolled: 2-line block ×3, first 2 shown]
	s_or_b32 s18, s16, s18
	s_andn2_b32 exec_lo, exec_lo, s18
	s_cbranch_execnz .LBB4_859
; %bb.860:                              ;   in Loop: Header=BB4_746 Depth=3
	s_inst_prefetch 0x2
	s_or_b32 exec_lo, exec_lo, s18
.LBB4_861:                              ;   in Loop: Header=BB4_746 Depth=3
	s_or_b32 exec_lo, exec_lo, s17
	v_lshlrev_b32_e32 v11, 11, v18
	v_mov_b32_e32 v10, 0
	s_mov_b32 s16, 0
	s_mov_b32 s18, exec_lo
                                        ; implicit-def: $vgpr8
                                        ; implicit-def: $vgpr9
	v_cmpx_ne_u32_e64 v68, v11
	s_cbranch_execz .LBB4_867
; %bb.862:                              ;   in Loop: Header=BB4_746 Depth=3
	v_lshlrev_b32_e32 v8, 5, v17
	v_sub_nc_u32_e32 v17, v68, v11
	s_mov_b32 s19, exec_lo
	v_sub_nc_u32_e32 v8, v102, v8
	v_ashrrev_i32_e32 v10, 31, v17
	v_ashrrev_i32_e32 v9, 31, v8
	v_lshrrev_b32_e32 v9, 27, v9
	v_add_nc_u32_e32 v18, v8, v9
	v_lshrrev_b32_e32 v9, 23, v10
	v_and_b32_e32 v10, 0xffffffe0, v18
	v_add_nc_u32_e32 v19, v17, v9
	v_ashrrev_i32_e32 v20, 5, v18
	v_sub_nc_u32_e32 v9, v8, v10
	v_and_b32_e32 v10, 0xfffffe00, v19
	v_ashrrev_i32_e32 v69, 9, v19
	v_lshlrev_b32_e32 v18, 4, v9
	v_sub_nc_u32_e32 v8, v17, v10
	v_lshl_add_u32 v19, v20, 9, v18
	v_cmp_lt_i32_e32 vcc_lo, 15, v8
	v_sub_nc_u32_e32 v18, v17, v19
	v_add_co_ci_u32_e64 v69, null, 0, v69, vcc_lo
	v_sub_nc_u32_e32 v17, v69, v20
	v_cmpx_lt_i32_e32 15, v18
	s_cbranch_execz .LBB4_866
; %bb.863:                              ;   in Loop: Header=BB4_746 Depth=3
	v_add_nc_u32_e32 v19, v19, v11
	s_mov_b32 s20, 0
	v_ashrrev_i32_e32 v20, 31, v19
	.p2align	6
.LBB4_864:                              ;   Parent Loop BB4_47 Depth=1
                                        ;     Parent Loop BB4_743 Depth=2
                                        ;       Parent Loop BB4_746 Depth=3
                                        ; =>      This Inner Loop Header: Depth=4
	v_add_co_u32 v69, s16, v13, v19
	v_add_co_ci_u32_e64 v70, null, v14, v20, s16
	v_sub_nc_u32_e32 v18, v18, v117
	v_sub_nc_u32_e32 v17, v17, v101
	global_load_dwordx4 v[80:83], v[69:70], off slc
	v_add_co_u32 v69, s16, v15, v19
	v_add_co_ci_u32_e64 v70, null, v16, v20, s16
	v_cmp_gt_i32_e64 s16, 16, v18
	v_add_co_u32 v19, s17, v19, v117
	v_add_co_ci_u32_e64 v20, null, 0, v20, s17
	s_or_b32 s20, s16, s20
	s_waitcnt vmcnt(0)
	global_store_dwordx4 v[69:70], v[80:83], off glc slc
	s_andn2_b32 exec_lo, exec_lo, s20
	s_cbranch_execnz .LBB4_864
; %bb.865:                              ;   in Loop: Header=BB4_746 Depth=3
	s_or_b32 exec_lo, exec_lo, s20
.LBB4_866:                              ;   in Loop: Header=BB4_746 Depth=3
	s_or_b32 exec_lo, exec_lo, s19
	v_and_b32_e32 v18, 15, v68
	v_cmp_lt_i32_e64 s16, 0, v17
	v_sub_nc_u32_e32 v19, v8, v18
	v_cndmask_b32_e64 v20, 0, v101, s16
	v_cndmask_b32_e32 v8, v8, v18, vcc_lo
	v_cndmask_b32_e32 v18, 0, v19, vcc_lo
	v_sub_nc_u32_e32 v17, v20, v17
	v_cmp_ne_u32_e32 vcc_lo, 0, v8
	v_add3_u32 v10, v10, v11, v18
	v_lshl_add_u32 v9, v17, 5, v9
	s_and_b32 s16, vcc_lo, exec_lo
.LBB4_867:                              ;   in Loop: Header=BB4_746 Depth=3
	s_or_b32 exec_lo, exec_lo, s18
	s_and_saveexec_b32 s17, s16
	s_cbranch_execz .LBB4_876
.LBB4_868:                              ;   in Loop: Header=BB4_746 Depth=3
	v_ashrrev_i32_e32 v11, 31, v9
	v_ashrrev_i32_e32 v17, 31, v8
	s_mov_b32 s16, exec_lo
	v_lshrrev_b32_e32 v11, 27, v11
	v_lshrrev_b32_e32 v17, 23, v17
	v_add_nc_u32_e32 v19, v9, v11
	v_add_nc_u32_e32 v17, v8, v17
	v_ashrrev_i32_e32 v11, 5, v19
	v_ashrrev_i32_e32 v18, 9, v17
	v_sub_nc_u32_e32 v17, v18, v11
	v_cmpx_lt_i32_e32 0, v17
	s_cbranch_execz .LBB4_872
; %bb.869:                              ;   in Loop: Header=BB4_746 Depth=3
	v_and_b32_e32 v19, 0xffffffe0, v19
	v_lshlrev_b32_e32 v20, 9, v11
	s_mov_b32 s18, 0
	v_sub_nc_u32_e32 v19, v9, v19
	v_add3_u32 v19, v10, v19, v20
	v_ashrrev_i32_e32 v20, 31, v19
.LBB4_870:                              ;   Parent Loop BB4_47 Depth=1
                                        ;     Parent Loop BB4_743 Depth=2
                                        ;       Parent Loop BB4_746 Depth=3
                                        ; =>      This Inner Loop Header: Depth=4
	v_add_co_u32 v69, vcc_lo, v19, v13
	v_add_co_ci_u32_e64 v70, null, v20, v14, vcc_lo
	v_sub_nc_u32_e32 v17, v17, v101
	s_clause 0xf
	flat_load_ubyte v71, v[69:70] slc
	flat_load_ubyte v80, v[69:70] offset:32 slc
	flat_load_ubyte v81, v[69:70] offset:64 slc
	;; [unrolled: 1-line block ×15, first 2 shown]
	v_add_co_u32 v69, vcc_lo, v19, v15
	v_add_co_ci_u32_e64 v70, null, v20, v16, vcc_lo
	v_add_co_u32 v13, vcc_lo, v13, v117
	v_add_co_ci_u32_e64 v14, null, 0, v14, vcc_lo
	;; [unrolled: 2-line block ×3, first 2 shown]
	v_cmp_gt_i32_e32 vcc_lo, 1, v17
	s_waitcnt vmcnt(15) lgkmcnt(15)
	flat_store_byte v[69:70], v71 glc slc
	s_waitcnt vmcnt(14) lgkmcnt(15)
	flat_store_byte v[69:70], v80 offset:32 glc slc
	s_waitcnt vmcnt(13) lgkmcnt(15)
	flat_store_byte v[69:70], v81 offset:64 glc slc
	;; [unrolled: 2-line block ×15, first 2 shown]
	s_or_b32 s18, vcc_lo, s18
	s_andn2_b32 exec_lo, exec_lo, s18
	s_cbranch_execnz .LBB4_870
; %bb.871:                              ;   in Loop: Header=BB4_746 Depth=3
	s_or_b32 exec_lo, exec_lo, s18
.LBB4_872:                              ;   in Loop: Header=BB4_746 Depth=3
	s_or_b32 exec_lo, exec_lo, s16
	v_lshlrev_b32_e32 v13, 9, v18
	v_cmp_ne_u32_e32 vcc_lo, v8, v13
	s_and_b32 exec_lo, exec_lo, vcc_lo
	s_cbranch_execz .LBB4_876
; %bb.873:                              ;   in Loop: Header=BB4_746 Depth=3
	v_lshlrev_b32_e32 v11, 5, v11
	v_sub_nc_u32_e32 v9, v9, v11
	v_lshlrev_b32_e32 v11, 5, v17
	v_sub_nc_u32_e32 v9, v9, v11
	v_add_nc_u32_e32 v13, v13, v9
	v_sub_nc_u32_e32 v11, v8, v13
	v_cmp_lt_i32_e32 vcc_lo, 0, v11
	s_and_b32 exec_lo, exec_lo, vcc_lo
	s_cbranch_execz .LBB4_876
; %bb.874:                              ;   in Loop: Header=BB4_746 Depth=3
	s_trap 2
	ds_read_b64 v[8:9], v0
	v_add_nc_u32_e32 v10, v13, v10
	s_mov_b32 s18, 0
	v_ashrrev_i32_e32 v13, 31, v10
	.p2align	6
.LBB4_875:                              ;   Parent Loop BB4_47 Depth=1
                                        ;     Parent Loop BB4_743 Depth=2
                                        ;       Parent Loop BB4_746 Depth=3
                                        ; =>      This Inner Loop Header: Depth=4
	s_waitcnt lgkmcnt(0)
	v_add_co_u32 v14, vcc_lo, v8, v10
	v_add_co_ci_u32_e64 v15, null, v9, v13, vcc_lo
	v_sub_nc_u32_e32 v11, v11, v112
	v_add_co_u32 v10, s16, v10, v112
	flat_load_ubyte v16, v[14:15] slc
	v_add_co_ci_u32_e64 v13, null, 0, v13, s16
	v_cmp_gt_i32_e32 vcc_lo, 1, v11
	s_or_b32 s18, vcc_lo, s18
	s_waitcnt vmcnt(0) lgkmcnt(0)
	flat_store_byte v[14:15], v16 glc slc
	s_andn2_b32 exec_lo, exec_lo, s18
	s_cbranch_execnz .LBB4_875
.LBB4_876:                              ;   in Loop: Header=BB4_746 Depth=3
	s_or_b32 exec_lo, exec_lo, s17
.LBB4_877:                              ;   in Loop: Header=BB4_746 Depth=3
	v_cmp_lt_i32_e64 s16, 0, v68
	s_and_saveexec_b32 s17, s6
	s_cbranch_execz .LBB4_822
.LBB4_878:                              ;   in Loop: Header=BB4_746 Depth=3
	s_and_saveexec_b32 s18, s29
	s_xor_b32 s18, exec_lo, s18
	s_cbranch_execz .LBB4_893
; %bb.879:                              ;   in Loop: Header=BB4_746 Depth=3
	s_and_saveexec_b32 s19, s11
	s_cbranch_execz .LBB4_892
; %bb.880:                              ;   in Loop: Header=BB4_746 Depth=3
	s_mov_b32 s21, exec_lo
	s_mov_b32 s20, exec_lo
	v_mbcnt_lo_u32_b32 v8, s21, 0
	s_waitcnt vmcnt(0) lgkmcnt(0)
	s_waitcnt_vscnt null, 0x0
	buffer_gl1_inv
	buffer_gl0_inv
	v_cmpx_eq_u32_e32 0, v8
	s_cbranch_execz .LBB4_882
; %bb.881:                              ;   in Loop: Header=BB4_746 Depth=3
	s_bcnt1_i32_b32 s21, s21
	v_mov_b32_e32 v9, v2
	v_mov_b32_e32 v8, s21
	ds_add_u64 v0, v[8:9]
	s_trap 2
.LBB4_882:                              ;   in Loop: Header=BB4_746 Depth=3
	s_or_b32 exec_lo, exec_lo, s20
	s_trap 2
	ds_read_b64 v[8:9], v0
	s_waitcnt lgkmcnt(0)
	buffer_gl0_inv
	v_add_co_u32 v38, vcc_lo, v38, v101
	v_add_co_ci_u32_e64 v39, null, 0, v39, vcc_lo
	s_mov_b32 s20, exec_lo
	v_cmpx_lt_u64_e64 v[8:9], v[38:39]
	s_cbranch_execz .LBB4_891
; %bb.883:                              ;   in Loop: Header=BB4_746 Depth=3
	s_mov_b32 s21, 0
	s_mov_b32 s75, 0
                                        ; implicit-def: $sgpr73
                                        ; implicit-def: $sgpr74
	s_inst_prefetch 0x1
	s_branch .LBB4_885
	.p2align	6
.LBB4_884:                              ;   in Loop: Header=BB4_885 Depth=4
	s_or_b32 exec_lo, exec_lo, s77
	s_and_b32 s76, exec_lo, s78
	s_or_b32 s21, s76, s21
	s_andn2_b32 s73, s73, exec_lo
	s_and_b32 s76, s74, exec_lo
	s_or_b32 s73, s73, s76
	s_andn2_b32 exec_lo, exec_lo, s21
	s_cbranch_execz .LBB4_889
.LBB4_885:                              ;   Parent Loop BB4_47 Depth=1
                                        ;     Parent Loop BB4_743 Depth=2
                                        ;       Parent Loop BB4_746 Depth=3
                                        ; =>      This Inner Loop Header: Depth=4
	s_add_i32 s75, s75, 1
	s_cmpk_lg_i32 s75, 0x2710
	s_cselect_b32 s76, -1, 0
	s_and_b32 vcc_lo, exec_lo, s76
	s_cbranch_vccz .LBB4_887
; %bb.886:                              ;   in Loop: Header=BB4_885 Depth=4
	s_mov_b32 s78, -1
	s_or_b32 s74, s74, exec_lo
	s_and_saveexec_b32 s77, s76
	s_cbranch_execz .LBB4_884
	s_branch .LBB4_888
	.p2align	6
.LBB4_887:                              ;   in Loop: Header=BB4_885 Depth=4
	s_trap 2
	ds_read_b64 v[8:9], v0
	s_andn2_b32 s76, s76, exec_lo
	s_mov_b32 s75, 0
	s_waitcnt lgkmcnt(0)
	flat_load_dword v8, v[8:9] glc dlc
	s_waitcnt vmcnt(0) lgkmcnt(0)
	buffer_gl1_inv
	buffer_gl0_inv
	v_cmp_eq_u32_e32 vcc_lo, 0, v8
	s_and_b32 s77, vcc_lo, exec_lo
	s_or_b32 s76, s76, s77
	s_mov_b32 s78, -1
	s_or_b32 s74, s74, exec_lo
	s_and_saveexec_b32 s77, s76
	s_cbranch_execz .LBB4_884
.LBB4_888:                              ;   in Loop: Header=BB4_885 Depth=4
	s_sleep 1
	s_trap 2
	ds_read_b64 v[8:9], v0
	s_waitcnt lgkmcnt(0)
	buffer_gl0_inv
	s_andn2_b32 s74, s74, exec_lo
	v_cmp_ge_u64_e32 vcc_lo, v[8:9], v[38:39]
	s_orn2_b32 s78, vcc_lo, exec_lo
	s_branch .LBB4_884
.LBB4_889:                              ;   in Loop: Header=BB4_746 Depth=3
	s_inst_prefetch 0x2
	s_or_b32 exec_lo, exec_lo, s21
	s_and_saveexec_b32 s21, s73
	s_xor_b32 s21, exec_lo, s21
	s_cbranch_execz .LBB4_891
; %bb.890:                              ;   in Loop: Header=BB4_746 Depth=3
	ds_write_b32 v0, v113
	s_trap 2
.LBB4_891:                              ;   in Loop: Header=BB4_746 Depth=3
	s_or_b32 exec_lo, exec_lo, s20
	;;#ASMSTART
	s_wakeup
	;;#ASMEND
.LBB4_892:                              ;   in Loop: Header=BB4_746 Depth=3
	s_or_b32 exec_lo, exec_lo, s19
.LBB4_893:                              ;   in Loop: Header=BB4_746 Depth=3
	s_andn2_saveexec_b32 s18, s18
	s_cbranch_execz .LBB4_895
; %bb.894:                              ;   in Loop: Header=BB4_746 Depth=3
	s_waitcnt vmcnt(0) lgkmcnt(0)
	s_waitcnt_vscnt null, 0x0
	buffer_gl1_inv
	buffer_gl0_inv
	s_barrier
.LBB4_895:                              ;   in Loop: Header=BB4_746 Depth=3
	s_or_b32 exec_lo, exec_lo, s18
	s_or_b32 exec_lo, exec_lo, s17
                                        ; implicit-def: $vgpr8
	s_and_saveexec_b32 s17, s15
	s_xor_b32 s17, exec_lo, s17
	s_cbranch_execnz .LBB4_823
.LBB4_896:                              ;   in Loop: Header=BB4_746 Depth=3
	s_andn2_saveexec_b32 s16, s17
	s_cbranch_execz .LBB4_915
.LBB4_897:                              ;   in Loop: Header=BB4_746 Depth=3
	s_and_saveexec_b32 s17, s29
	s_xor_b32 s17, exec_lo, s17
	s_cbranch_execz .LBB4_912
; %bb.898:                              ;   in Loop: Header=BB4_746 Depth=3
	s_and_saveexec_b32 s18, s11
	s_cbranch_execz .LBB4_911
; %bb.899:                              ;   in Loop: Header=BB4_746 Depth=3
	s_mov_b32 s20, exec_lo
	s_mov_b32 s19, exec_lo
	v_mbcnt_lo_u32_b32 v8, s20, 0
	;;#ASMSTART
	s_waitcnt lgkmcnt(0) vmcnt(0)
	;;#ASMEND
	v_cmpx_eq_u32_e32 0, v8
	s_cbranch_execz .LBB4_901
; %bb.900:                              ;   in Loop: Header=BB4_746 Depth=3
	s_bcnt1_i32_b32 s20, s20
	v_mov_b32_e32 v9, v2
	v_mov_b32_e32 v8, s20
	s_waitcnt vmcnt(0) lgkmcnt(0)
	s_waitcnt_vscnt null, 0x0
	ds_add_u64 v0, v[8:9]
	s_trap 2
.LBB4_901:                              ;   in Loop: Header=BB4_746 Depth=3
	s_or_b32 exec_lo, exec_lo, s19
	s_trap 2
	ds_read_b64 v[8:9], v0
	s_waitcnt vmcnt(0) lgkmcnt(0)
	buffer_gl0_inv
	v_add_co_u32 v38, vcc_lo, v38, v101
	v_add_co_ci_u32_e64 v39, null, 0, v39, vcc_lo
	s_mov_b32 s19, exec_lo
	v_cmpx_lt_u64_e64 v[8:9], v[38:39]
	s_cbranch_execz .LBB4_910
; %bb.902:                              ;   in Loop: Header=BB4_746 Depth=3
	s_mov_b32 s20, 0
	s_mov_b32 s74, 0
                                        ; implicit-def: $sgpr21
                                        ; implicit-def: $sgpr73
	s_inst_prefetch 0x1
	s_branch .LBB4_904
	.p2align	6
.LBB4_903:                              ;   in Loop: Header=BB4_904 Depth=4
	s_or_b32 exec_lo, exec_lo, s76
	s_and_b32 s75, exec_lo, s77
	s_or_b32 s20, s75, s20
	s_andn2_b32 s21, s21, exec_lo
	s_and_b32 s75, s73, exec_lo
	s_or_b32 s21, s21, s75
	s_andn2_b32 exec_lo, exec_lo, s20
	s_cbranch_execz .LBB4_908
.LBB4_904:                              ;   Parent Loop BB4_47 Depth=1
                                        ;     Parent Loop BB4_743 Depth=2
                                        ;       Parent Loop BB4_746 Depth=3
                                        ; =>      This Inner Loop Header: Depth=4
	s_add_i32 s74, s74, 1
	s_cmpk_lg_i32 s74, 0x2710
	s_cselect_b32 s75, -1, 0
	s_and_b32 vcc_lo, exec_lo, s75
	s_cbranch_vccz .LBB4_906
; %bb.905:                              ;   in Loop: Header=BB4_904 Depth=4
	s_mov_b32 s77, -1
	s_or_b32 s73, s73, exec_lo
	s_and_saveexec_b32 s76, s75
	s_cbranch_execz .LBB4_903
	s_branch .LBB4_907
	.p2align	6
.LBB4_906:                              ;   in Loop: Header=BB4_904 Depth=4
	s_trap 2
	ds_read_b64 v[8:9], v0
	s_andn2_b32 s75, s75, exec_lo
	s_mov_b32 s74, 0
	s_waitcnt lgkmcnt(0)
	s_waitcnt_vscnt null, 0x0
	flat_load_dword v8, v[8:9] glc dlc
	s_waitcnt vmcnt(0) lgkmcnt(0)
	buffer_gl1_inv
	buffer_gl0_inv
	v_cmp_eq_u32_e32 vcc_lo, 0, v8
	s_and_b32 s76, vcc_lo, exec_lo
	s_or_b32 s75, s75, s76
	s_mov_b32 s77, -1
	s_or_b32 s73, s73, exec_lo
	s_and_saveexec_b32 s76, s75
	s_cbranch_execz .LBB4_903
.LBB4_907:                              ;   in Loop: Header=BB4_904 Depth=4
	s_sleep 1
	s_trap 2
	ds_read_b64 v[8:9], v0
	s_waitcnt lgkmcnt(0)
	buffer_gl0_inv
	s_andn2_b32 s73, s73, exec_lo
	v_cmp_ge_u64_e32 vcc_lo, v[8:9], v[38:39]
	s_orn2_b32 s77, vcc_lo, exec_lo
	s_branch .LBB4_903
.LBB4_908:                              ;   in Loop: Header=BB4_746 Depth=3
	s_inst_prefetch 0x2
	s_or_b32 exec_lo, exec_lo, s20
	s_and_saveexec_b32 s20, s21
	s_xor_b32 s20, exec_lo, s20
	s_cbranch_execz .LBB4_910
; %bb.909:                              ;   in Loop: Header=BB4_746 Depth=3
	ds_write_b32 v0, v113
	s_trap 2
.LBB4_910:                              ;   in Loop: Header=BB4_746 Depth=3
	s_or_b32 exec_lo, exec_lo, s19
	;;#ASMSTART
	s_wakeup
	;;#ASMEND
.LBB4_911:                              ;   in Loop: Header=BB4_746 Depth=3
	s_or_b32 exec_lo, exec_lo, s18
.LBB4_912:                              ;   in Loop: Header=BB4_746 Depth=3
	s_andn2_saveexec_b32 s17, s17
	s_cbranch_execz .LBB4_914
; %bb.913:                              ;   in Loop: Header=BB4_746 Depth=3
	;;#ASMSTART
	s_waitcnt lgkmcnt(0) vmcnt(0)
	;;#ASMEND
	s_barrier
.LBB4_914:                              ;   in Loop: Header=BB4_746 Depth=3
	s_or_b32 exec_lo, exec_lo, s17
	v_and_b32_e32 v8, 16, v98
.LBB4_915:                              ;   in Loop: Header=BB4_746 Depth=3
	s_or_b32 exec_lo, exec_lo, s16
	v_cmp_ne_u32_e32 vcc_lo, 0, v8
	s_xor_b32 s16, s7, -1
	s_and_b32 s17, vcc_lo, s16
	s_and_saveexec_b32 s16, s17
	s_cbranch_execz .LBB4_917
; %bb.916:                              ;   in Loop: Header=BB4_746 Depth=3
	s_waitcnt vmcnt(0) lgkmcnt(0)
	s_waitcnt_vscnt null, 0x0
	flat_store_dword v[36:37], v113
.LBB4_917:                              ;   in Loop: Header=BB4_746 Depth=3
	s_or_b32 exec_lo, exec_lo, s16
	v_and_b32_e32 v8, 48, v98
	s_mov_b32 s16, exec_lo
	v_cmpx_ne_u32_e32 0, v8
	s_cbranch_execz .LBB4_745
; %bb.918:                              ;   in Loop: Header=BB4_746 Depth=3
	v_add_co_u32 v64, vcc_lo, v64, 2
	v_add_co_ci_u32_e64 v65, null, 0, v65, vcc_lo
	s_waitcnt vmcnt(0) lgkmcnt(0)
	s_waitcnt_vscnt null, 0x0
	flat_store_dwordx2 v[32:33], v[64:65]
	s_branch .LBB4_745
.LBB4_919:                              ;   in Loop: Header=BB4_743 Depth=2
	s_or_b32 exec_lo, exec_lo, s62
.LBB4_920:                              ;   in Loop: Header=BB4_743 Depth=2
	s_or_b32 exec_lo, exec_lo, s61
	s_mov_b32 s17, exec_lo
	v_cmpx_gt_i32_e32 2, v10
	s_cbranch_execz .LBB4_996
; %bb.921:                              ;   in Loop: Header=BB4_743 Depth=2
	v_cmp_eq_u32_e64 s19, 0, v10
	s_mov_b32 s18, 0
	s_branch .LBB4_923
.LBB4_922:                              ;   in Loop: Header=BB4_923 Depth=3
	s_or_b32 exec_lo, exec_lo, s16
	v_add_nc_u32_e32 v21, v12, v21
	s_mov_b32 s19, 0
	s_andn2_b32 exec_lo, exec_lo, s18
	s_cbranch_execz .LBB4_995
.LBB4_923:                              ;   Parent Loop BB4_47 Depth=1
                                        ;     Parent Loop BB4_743 Depth=2
                                        ; =>    This Loop Header: Depth=3
                                        ;         Child Loop BB4_929 Depth 4
                                        ;         Child Loop BB4_957 Depth 4
	;; [unrolled: 1-line block ×3, first 2 shown]
	v_sub_nc_u32_e32 v8, v3, v21
	v_and_b32_e32 v9, 12, v98
	s_mov_b32 s20, exec_lo
	v_min_i32_e32 v12, v12, v8
	v_cmpx_ne_u32_e32 0, v9
	s_cbranch_execz .LBB4_949
; %bb.924:                              ;   in Loop: Header=BB4_923 Depth=3
	v_and_b32_e32 v17, 8, v98
	s_mov_b32 s21, exec_lo
	s_waitcnt vmcnt(0) lgkmcnt(1)
	v_add_co_u32 v10, vcc_lo, v48, v17
	v_add_co_ci_u32_e64 v11, null, 0, v49, vcc_lo
	v_add_co_u32 v8, vcc_lo, v64, 2
	v_add_co_ci_u32_e64 v9, null, 0, v65, vcc_lo
	v_cmpx_lt_u64_e64 v[10:11], v[8:9]
	s_cbranch_execz .LBB4_936
; %bb.925:                              ;   in Loop: Header=BB4_923 Depth=3
	v_and_b32_e32 v10, 64, v98
	s_mov_b32 s61, 0
	s_mov_b32 s73, 0
                                        ; implicit-def: $sgpr62
                                        ; implicit-def: $sgpr63
                                        ; implicit-def: $sgpr72
	v_cmp_eq_u32_e32 vcc_lo, 0, v10
	s_branch .LBB4_929
.LBB4_926:                              ;   in Loop: Header=BB4_929 Depth=4
	s_waitcnt vmcnt(0) lgkmcnt(0)
	v_add_co_u32 v13, s16, v48, v17
	v_add_co_ci_u32_e64 v14, null, 0, v49, s16
	s_or_b32 s76, s76, exec_lo
	v_cmp_ge_u64_e64 s16, v[13:14], v[8:9]
	s_orn2_b32 s75, s16, exec_lo
.LBB4_927:                              ;   in Loop: Header=BB4_929 Depth=4
	s_or_b32 exec_lo, exec_lo, s78
	s_andn2_b32 s16, s72, exec_lo
	s_and_b32 s72, s76, exec_lo
	s_andn2_b32 s63, s63, exec_lo
	s_and_b32 s75, s75, exec_lo
	s_or_b32 s72, s16, s72
	s_or_b32 s63, s63, s75
.LBB4_928:                              ;   in Loop: Header=BB4_929 Depth=4
	s_or_b32 exec_lo, exec_lo, s74
	s_and_b32 s16, exec_lo, s63
	s_or_b32 s61, s16, s61
	s_andn2_b32 s16, s62, exec_lo
	s_and_b32 s62, s72, exec_lo
	s_or_b32 s62, s16, s62
	s_andn2_b32 exec_lo, exec_lo, s61
	s_cbranch_execz .LBB4_933
.LBB4_929:                              ;   Parent Loop BB4_47 Depth=1
                                        ;     Parent Loop BB4_743 Depth=2
                                        ;       Parent Loop BB4_923 Depth=3
                                        ; =>      This Inner Loop Header: Depth=4
	s_sleep 1
	s_waitcnt vmcnt(0) lgkmcnt(0)
	flat_load_dwordx2 v[48:49], v[32:33] glc dlc
	s_or_b32 s72, s72, exec_lo
	s_or_b32 s63, s63, exec_lo
                                        ; implicit-def: $vgpr10
	s_and_saveexec_b32 s74, vcc_lo
	s_cbranch_execz .LBB4_928
; %bb.930:                              ;   in Loop: Header=BB4_929 Depth=4
	s_cmpk_lt_i32 s73, 0x270f
	s_mov_b32 s75, -1
	s_cselect_b32 s77, -1, 0
	s_cmpk_gt_i32 s73, 0x270e
	s_cbranch_scc0 .LBB4_932
; %bb.931:                              ;   in Loop: Header=BB4_929 Depth=4
	s_trap 2
	ds_read_b64 v[10:11], v0
	s_andn2_b32 s73, s77, exec_lo
	s_mov_b32 s76, 0
	s_waitcnt vmcnt(0) lgkmcnt(0)
	s_waitcnt_vscnt null, 0x0
	flat_load_dword v10, v[10:11] glc dlc
	s_waitcnt vmcnt(0) lgkmcnt(0)
	buffer_gl1_inv
	buffer_gl0_inv
	v_cmp_eq_u32_e64 s16, 0, v10
	s_and_b32 s16, s16, exec_lo
	s_or_b32 s77, s73, s16
	s_mov_b32 s73, 0
	s_and_saveexec_b32 s78, s77
	s_cbranch_execz .LBB4_927
	s_branch .LBB4_926
.LBB4_932:                              ;   in Loop: Header=BB4_929 Depth=4
	s_add_i32 s73, s73, 1
	s_mov_b32 s76, -1
                                        ; implicit-def: $vgpr10
	s_and_saveexec_b32 s78, s77
	s_cbranch_execz .LBB4_927
	s_branch .LBB4_926
.LBB4_933:                              ;   in Loop: Header=BB4_923 Depth=3
	s_or_b32 exec_lo, exec_lo, s61
	s_xor_b32 s16, s62, -1
	s_and_saveexec_b32 s61, s16
	s_xor_b32 s16, exec_lo, s61
	s_cbranch_execz .LBB4_935
; %bb.934:                              ;   in Loop: Header=BB4_923 Depth=3
	v_or_b32_e32 v98, 64, v98
	s_waitcnt vmcnt(0) lgkmcnt(0)
	s_waitcnt_vscnt null, 0x0
	ds_write_b32 v0, v10
	s_trap 2
.LBB4_935:                              ;   in Loop: Header=BB4_923 Depth=3
	s_or_b32 exec_lo, exec_lo, s16
.LBB4_936:                              ;   in Loop: Header=BB4_923 Depth=3
	s_or_b32 exec_lo, exec_lo, s21
	v_and_b32_e32 v10, 0x108, v98
	;;#ASMSTART
	s_wakeup
	;;#ASMEND
	v_cmp_ne_u32_e32 vcc_lo, 0x108, v10
                                        ; implicit-def: $vgpr10_vgpr11
	s_and_saveexec_b32 s16, vcc_lo
	s_xor_b32 s16, exec_lo, s16
; %bb.937:                              ;   in Loop: Header=BB4_923 Depth=3
	v_and_b32_e32 v10, 7, v64
	v_mov_b32_e32 v11, v2
                                        ; implicit-def: $vgpr64_vgpr65
; %bb.938:                              ;   in Loop: Header=BB4_923 Depth=3
	s_andn2_saveexec_b32 s16, s16
	s_cbranch_execz .LBB4_940
; %bb.939:                              ;   in Loop: Header=BB4_923 Depth=3
	v_and_b32_e32 v10, 7, v64
	v_ashrrev_i32_e32 v13, 31, v12
	v_mov_b32_e32 v11, v2
	v_mad_u64_u32 v[14:15], null, v10, 24, v[6:7]
	flat_store_dwordx2 v[14:15], v[12:13] offset:8
.LBB4_940:                              ;   in Loop: Header=BB4_923 Depth=3
	s_or_b32 exec_lo, exec_lo, s16
	v_and_b32_e32 v13, 0x100, v98
	s_mov_b32 s16, -1
	v_cmp_ne_u32_e32 vcc_lo, 0, v13
                                        ; implicit-def: $vgpr13_vgpr14
	s_and_saveexec_b32 s21, vcc_lo
	s_cbranch_execz .LBB4_944
; %bb.941:                              ;   in Loop: Header=BB4_923 Depth=3
	v_mad_u64_u32 v[15:16], null, v10, 24, v[6:7]
	v_mov_b32_e32 v13, v16
	v_mad_u64_u32 v[13:14], null, v11, 24, v[13:14]
	v_mov_b32_e32 v16, v13
	flat_load_dword v13, v[15:16]
	s_waitcnt vmcnt(0) lgkmcnt(0)
	v_cmp_eq_u32_e64 s16, 1, v13
	v_cmp_ne_u32_e32 vcc_lo, 1, v13
                                        ; implicit-def: $vgpr13_vgpr14
	s_and_saveexec_b32 s61, s16
	s_cbranch_execz .LBB4_943
; %bb.942:                              ;   in Loop: Header=BB4_923 Depth=3
	flat_load_dword v13, v[15:16] offset:4 glc dlc
	s_waitcnt vmcnt(0) lgkmcnt(0)
	v_ashrrev_i32_e32 v14, 31, v13
.LBB4_943:                              ;   in Loop: Header=BB4_923 Depth=3
	s_or_b32 exec_lo, exec_lo, s61
	s_orn2_b32 s16, vcc_lo, exec_lo
.LBB4_944:                              ;   in Loop: Header=BB4_923 Depth=3
	s_or_b32 exec_lo, exec_lo, s21
	s_and_saveexec_b32 s21, s16
; %bb.945:                              ;   in Loop: Header=BB4_923 Depth=3
	v_mul_lo_u32 v11, v11, v99
	v_mul_lo_u32 v15, v10, v100
	v_mad_u64_u32 v[13:14], null, v10, v99, 0
	v_add3_u32 v14, v14, v15, v11
; %bb.946:                              ;   in Loop: Header=BB4_923 Depth=3
	s_or_b32 exec_lo, exec_lo, s21
	v_cmp_eq_u32_e32 vcc_lo, 0, v17
	v_and_b32_e32 v16, 0x2000, v98
	s_mov_b32 s16, exec_lo
	v_cndmask_b32_e32 v15, 0xd0, v115, vcc_lo
	v_add_co_u32 v10, vcc_lo, v34, v13
	v_add_co_ci_u32_e64 v11, null, v35, v14, vcc_lo
	v_add_nc_u32_e32 v13, v0, v15
	ds_write_b64 v13, v[10:11] offset:584
	v_cmpx_ne_u32_e32 0, v16
	s_cbranch_execz .LBB4_948
; %bb.947:                              ;   in Loop: Header=BB4_923 Depth=3
	ds_read_b64 v[10:11], v0 offset:872
	s_waitcnt lgkmcnt(0)
	v_add_co_u32 v10, vcc_lo, v10, 1
	v_add_co_ci_u32_e64 v11, null, 0, v11, vcc_lo
	ds_write_b64 v0, v[10:11] offset:872
.LBB4_948:                              ;   in Loop: Header=BB4_923 Depth=3
	s_or_b32 exec_lo, exec_lo, s16
	v_mov_b32_e32 v65, v9
	v_mov_b32_e32 v64, v8
.LBB4_949:                              ;   in Loop: Header=BB4_923 Depth=3
	s_or_b32 exec_lo, exec_lo, s20
	s_xor_b32 s16, s19, -1
	s_and_b32 s16, exec_lo, s16
	s_or_b32 s18, s16, s18
	s_and_saveexec_b32 s16, s6
	s_cbranch_execz .LBB4_968
; %bb.950:                              ;   in Loop: Header=BB4_923 Depth=3
	s_and_saveexec_b32 s19, s29
	s_xor_b32 s19, exec_lo, s19
	s_cbranch_execz .LBB4_965
; %bb.951:                              ;   in Loop: Header=BB4_923 Depth=3
	s_and_saveexec_b32 s20, s11
	s_cbranch_execz .LBB4_964
; %bb.952:                              ;   in Loop: Header=BB4_923 Depth=3
	s_mov_b32 s61, exec_lo
	s_mov_b32 s21, exec_lo
	v_mbcnt_lo_u32_b32 v8, s61, 0
	s_waitcnt vmcnt(0) lgkmcnt(0)
	s_waitcnt_vscnt null, 0x0
	buffer_gl1_inv
	buffer_gl0_inv
	v_cmpx_eq_u32_e32 0, v8
	s_cbranch_execz .LBB4_954
; %bb.953:                              ;   in Loop: Header=BB4_923 Depth=3
	s_bcnt1_i32_b32 s61, s61
	v_mov_b32_e32 v9, v2
	v_mov_b32_e32 v8, s61
	ds_add_u64 v0, v[8:9]
	s_trap 2
.LBB4_954:                              ;   in Loop: Header=BB4_923 Depth=3
	s_or_b32 exec_lo, exec_lo, s21
	s_trap 2
	ds_read_b64 v[8:9], v0
	s_waitcnt lgkmcnt(0)
	buffer_gl0_inv
	v_add_co_u32 v38, vcc_lo, v38, v101
	v_add_co_ci_u32_e64 v39, null, 0, v39, vcc_lo
	s_mov_b32 s21, exec_lo
	v_cmpx_lt_u64_e64 v[8:9], v[38:39]
	s_cbranch_execz .LBB4_963
; %bb.955:                              ;   in Loop: Header=BB4_923 Depth=3
	s_mov_b32 s61, 0
	s_mov_b32 s72, 0
                                        ; implicit-def: $sgpr62
                                        ; implicit-def: $sgpr63
	s_inst_prefetch 0x1
	s_branch .LBB4_957
	.p2align	6
.LBB4_956:                              ;   in Loop: Header=BB4_957 Depth=4
	s_or_b32 exec_lo, exec_lo, s74
	s_and_b32 s73, exec_lo, s75
	s_or_b32 s61, s73, s61
	s_andn2_b32 s62, s62, exec_lo
	s_and_b32 s73, s63, exec_lo
	s_or_b32 s62, s62, s73
	s_andn2_b32 exec_lo, exec_lo, s61
	s_cbranch_execz .LBB4_961
.LBB4_957:                              ;   Parent Loop BB4_47 Depth=1
                                        ;     Parent Loop BB4_743 Depth=2
                                        ;       Parent Loop BB4_923 Depth=3
                                        ; =>      This Inner Loop Header: Depth=4
	s_add_i32 s72, s72, 1
	s_cmpk_lg_i32 s72, 0x2710
	s_cselect_b32 s73, -1, 0
	s_and_b32 vcc_lo, exec_lo, s73
	s_cbranch_vccz .LBB4_959
; %bb.958:                              ;   in Loop: Header=BB4_957 Depth=4
	s_mov_b32 s75, -1
	s_or_b32 s63, s63, exec_lo
	s_and_saveexec_b32 s74, s73
	s_cbranch_execz .LBB4_956
	s_branch .LBB4_960
	.p2align	6
.LBB4_959:                              ;   in Loop: Header=BB4_957 Depth=4
	s_trap 2
	ds_read_b64 v[8:9], v0
	s_andn2_b32 s73, s73, exec_lo
	s_mov_b32 s72, 0
	s_waitcnt lgkmcnt(0)
	flat_load_dword v8, v[8:9] glc dlc
	s_waitcnt vmcnt(0) lgkmcnt(0)
	buffer_gl1_inv
	buffer_gl0_inv
	v_cmp_eq_u32_e32 vcc_lo, 0, v8
	s_and_b32 s74, vcc_lo, exec_lo
	s_or_b32 s73, s73, s74
	s_mov_b32 s75, -1
	s_or_b32 s63, s63, exec_lo
	s_and_saveexec_b32 s74, s73
	s_cbranch_execz .LBB4_956
.LBB4_960:                              ;   in Loop: Header=BB4_957 Depth=4
	s_sleep 1
	s_trap 2
	ds_read_b64 v[8:9], v0
	s_waitcnt lgkmcnt(0)
	buffer_gl0_inv
	s_andn2_b32 s63, s63, exec_lo
	v_cmp_ge_u64_e32 vcc_lo, v[8:9], v[38:39]
	s_orn2_b32 s75, vcc_lo, exec_lo
	s_branch .LBB4_956
.LBB4_961:                              ;   in Loop: Header=BB4_923 Depth=3
	s_inst_prefetch 0x2
	s_or_b32 exec_lo, exec_lo, s61
	s_and_saveexec_b32 s61, s62
	s_xor_b32 s61, exec_lo, s61
	s_cbranch_execz .LBB4_963
; %bb.962:                              ;   in Loop: Header=BB4_923 Depth=3
	ds_write_b32 v0, v113
	s_trap 2
.LBB4_963:                              ;   in Loop: Header=BB4_923 Depth=3
	s_or_b32 exec_lo, exec_lo, s21
	;;#ASMSTART
	s_wakeup
	;;#ASMEND
.LBB4_964:                              ;   in Loop: Header=BB4_923 Depth=3
	s_or_b32 exec_lo, exec_lo, s20
.LBB4_965:                              ;   in Loop: Header=BB4_923 Depth=3
	s_andn2_saveexec_b32 s19, s19
	s_cbranch_execz .LBB4_967
; %bb.966:                              ;   in Loop: Header=BB4_923 Depth=3
	s_waitcnt vmcnt(0) lgkmcnt(0)
	s_waitcnt_vscnt null, 0x0
	buffer_gl1_inv
	buffer_gl0_inv
	s_barrier
.LBB4_967:                              ;   in Loop: Header=BB4_923 Depth=3
	s_or_b32 exec_lo, exec_lo, s19
.LBB4_968:                              ;   in Loop: Header=BB4_923 Depth=3
	s_or_b32 exec_lo, exec_lo, s16
                                        ; implicit-def: $vgpr8
	s_and_saveexec_b32 s16, s15
	s_xor_b32 s19, exec_lo, s16
	s_cbranch_execz .LBB4_972
; %bb.969:                              ;   in Loop: Header=BB4_923 Depth=3
	s_trap 2
	ds_read_b32 v8, v0
	v_cmp_lt_i32_e32 vcc_lo, 0, v12
	s_waitcnt lgkmcnt(0)
	v_readfirstlane_b32 s16, v8
	v_and_b32_e32 v8, 16, v98
	s_cmp_eq_u32 s16, 0
	v_cmp_ne_u32_e64 s16, 0, v8
	s_cselect_b32 s20, -1, 0
	v_and_b32_e32 v8, 16, v98
	s_and_b32 s20, vcc_lo, s20
	s_and_b32 s20, s16, s20
	s_and_saveexec_b32 s16, s20
	s_cbranch_execz .LBB4_971
; %bb.970:                              ;   in Loop: Header=BB4_923 Depth=3
	v_mov_b32_e32 v8, 1
	s_waitcnt vmcnt(0)
	s_waitcnt_vscnt null, 0x0
	buffer_gl1_inv
	buffer_gl0_inv
.LBB4_971:                              ;   in Loop: Header=BB4_923 Depth=3
	s_or_b32 exec_lo, exec_lo, s16
	s_andn2_saveexec_b32 s16, s19
	s_cbranch_execz .LBB4_991
	s_branch .LBB4_973
.LBB4_972:                              ;   in Loop: Header=BB4_923 Depth=3
	s_andn2_saveexec_b32 s16, s19
	s_cbranch_execz .LBB4_991
.LBB4_973:                              ;   in Loop: Header=BB4_923 Depth=3
	s_and_saveexec_b32 s19, s29
	s_xor_b32 s19, exec_lo, s19
	s_cbranch_execz .LBB4_988
; %bb.974:                              ;   in Loop: Header=BB4_923 Depth=3
	s_and_saveexec_b32 s20, s11
	s_cbranch_execz .LBB4_987
; %bb.975:                              ;   in Loop: Header=BB4_923 Depth=3
	s_mov_b32 s61, exec_lo
	s_mov_b32 s21, exec_lo
	v_mbcnt_lo_u32_b32 v8, s61, 0
	;;#ASMSTART
	s_waitcnt lgkmcnt(0) vmcnt(0)
	;;#ASMEND
	v_cmpx_eq_u32_e32 0, v8
	s_cbranch_execz .LBB4_977
; %bb.976:                              ;   in Loop: Header=BB4_923 Depth=3
	s_bcnt1_i32_b32 s61, s61
	v_mov_b32_e32 v9, v2
	v_mov_b32_e32 v8, s61
	s_waitcnt vmcnt(0) lgkmcnt(0)
	s_waitcnt_vscnt null, 0x0
	ds_add_u64 v0, v[8:9]
	s_trap 2
.LBB4_977:                              ;   in Loop: Header=BB4_923 Depth=3
	s_or_b32 exec_lo, exec_lo, s21
	s_trap 2
	ds_read_b64 v[8:9], v0
	s_waitcnt vmcnt(0) lgkmcnt(0)
	buffer_gl0_inv
	v_add_co_u32 v38, vcc_lo, v38, v101
	v_add_co_ci_u32_e64 v39, null, 0, v39, vcc_lo
	s_mov_b32 s21, exec_lo
	v_cmpx_lt_u64_e64 v[8:9], v[38:39]
	s_cbranch_execz .LBB4_986
; %bb.978:                              ;   in Loop: Header=BB4_923 Depth=3
	s_mov_b32 s61, 0
	s_mov_b32 s72, 0
                                        ; implicit-def: $sgpr62
                                        ; implicit-def: $sgpr63
	s_inst_prefetch 0x1
	s_branch .LBB4_980
	.p2align	6
.LBB4_979:                              ;   in Loop: Header=BB4_980 Depth=4
	s_or_b32 exec_lo, exec_lo, s74
	s_and_b32 s73, exec_lo, s75
	s_or_b32 s61, s73, s61
	s_andn2_b32 s62, s62, exec_lo
	s_and_b32 s73, s63, exec_lo
	s_or_b32 s62, s62, s73
	s_andn2_b32 exec_lo, exec_lo, s61
	s_cbranch_execz .LBB4_984
.LBB4_980:                              ;   Parent Loop BB4_47 Depth=1
                                        ;     Parent Loop BB4_743 Depth=2
                                        ;       Parent Loop BB4_923 Depth=3
                                        ; =>      This Inner Loop Header: Depth=4
	s_add_i32 s72, s72, 1
	s_cmpk_lg_i32 s72, 0x2710
	s_cselect_b32 s73, -1, 0
	s_and_b32 vcc_lo, exec_lo, s73
	s_cbranch_vccz .LBB4_982
; %bb.981:                              ;   in Loop: Header=BB4_980 Depth=4
	s_mov_b32 s75, -1
	s_or_b32 s63, s63, exec_lo
	s_and_saveexec_b32 s74, s73
	s_cbranch_execz .LBB4_979
	s_branch .LBB4_983
	.p2align	6
.LBB4_982:                              ;   in Loop: Header=BB4_980 Depth=4
	s_trap 2
	ds_read_b64 v[8:9], v0
	s_andn2_b32 s73, s73, exec_lo
	s_mov_b32 s72, 0
	s_waitcnt lgkmcnt(0)
	s_waitcnt_vscnt null, 0x0
	flat_load_dword v8, v[8:9] glc dlc
	s_waitcnt vmcnt(0) lgkmcnt(0)
	buffer_gl1_inv
	buffer_gl0_inv
	v_cmp_eq_u32_e32 vcc_lo, 0, v8
	s_and_b32 s74, vcc_lo, exec_lo
	s_or_b32 s73, s73, s74
	s_mov_b32 s75, -1
	s_or_b32 s63, s63, exec_lo
	s_and_saveexec_b32 s74, s73
	s_cbranch_execz .LBB4_979
.LBB4_983:                              ;   in Loop: Header=BB4_980 Depth=4
	s_sleep 1
	s_trap 2
	ds_read_b64 v[8:9], v0
	s_waitcnt lgkmcnt(0)
	buffer_gl0_inv
	s_andn2_b32 s63, s63, exec_lo
	v_cmp_ge_u64_e32 vcc_lo, v[8:9], v[38:39]
	s_orn2_b32 s75, vcc_lo, exec_lo
	s_branch .LBB4_979
.LBB4_984:                              ;   in Loop: Header=BB4_923 Depth=3
	s_inst_prefetch 0x2
	s_or_b32 exec_lo, exec_lo, s61
	s_and_saveexec_b32 s61, s62
	s_xor_b32 s61, exec_lo, s61
	s_cbranch_execz .LBB4_986
; %bb.985:                              ;   in Loop: Header=BB4_923 Depth=3
	ds_write_b32 v0, v113
	s_trap 2
.LBB4_986:                              ;   in Loop: Header=BB4_923 Depth=3
	s_or_b32 exec_lo, exec_lo, s21
	;;#ASMSTART
	s_wakeup
	;;#ASMEND
.LBB4_987:                              ;   in Loop: Header=BB4_923 Depth=3
	s_or_b32 exec_lo, exec_lo, s20
.LBB4_988:                              ;   in Loop: Header=BB4_923 Depth=3
	s_andn2_saveexec_b32 s19, s19
	s_cbranch_execz .LBB4_990
; %bb.989:                              ;   in Loop: Header=BB4_923 Depth=3
	;;#ASMSTART
	s_waitcnt lgkmcnt(0) vmcnt(0)
	;;#ASMEND
	s_barrier
.LBB4_990:                              ;   in Loop: Header=BB4_923 Depth=3
	s_or_b32 exec_lo, exec_lo, s19
	v_and_b32_e32 v8, 16, v98
.LBB4_991:                              ;   in Loop: Header=BB4_923 Depth=3
	s_or_b32 exec_lo, exec_lo, s16
	v_cmp_ne_u32_e32 vcc_lo, 0, v8
	s_xor_b32 s16, s7, -1
	s_and_b32 s19, vcc_lo, s16
	s_and_saveexec_b32 s16, s19
	s_cbranch_execz .LBB4_993
; %bb.992:                              ;   in Loop: Header=BB4_923 Depth=3
	s_waitcnt vmcnt(0) lgkmcnt(0)
	s_waitcnt_vscnt null, 0x0
	flat_store_dword v[36:37], v113
.LBB4_993:                              ;   in Loop: Header=BB4_923 Depth=3
	s_or_b32 exec_lo, exec_lo, s16
	v_and_b32_e32 v8, 48, v98
	s_mov_b32 s16, exec_lo
	v_cmpx_ne_u32_e32 0, v8
	s_cbranch_execz .LBB4_922
; %bb.994:                              ;   in Loop: Header=BB4_923 Depth=3
	v_add_co_u32 v64, vcc_lo, v64, 2
	v_add_co_ci_u32_e64 v65, null, 0, v65, vcc_lo
	s_waitcnt vmcnt(0) lgkmcnt(0)
	s_waitcnt_vscnt null, 0x0
	flat_store_dwordx2 v[32:33], v[64:65]
	s_branch .LBB4_922
.LBB4_995:                              ;   in Loop: Header=BB4_743 Depth=2
	s_or_b32 exec_lo, exec_lo, s18
.LBB4_996:                              ;   in Loop: Header=BB4_743 Depth=2
	s_or_b32 exec_lo, exec_lo, s17
	s_add_i32 s16, s23, 1
	s_cmp_eq_u32 s23, s56
	s_cbranch_scc1 .LBB4_998
; %bb.997:                              ;   in Loop: Header=BB4_743 Depth=2
	s_mov_b32 s23, s16
	s_branch .LBB4_743
.LBB4_998:                              ;   in Loop: Header=BB4_47 Depth=1
	v_mul_lo_u32 v3, v55, s58
	v_mul_lo_u32 v10, v54, s59
	v_mad_u64_u32 v[8:9], null, v54, s58, 0
	v_mov_b32_e32 v17, 0
	v_add3_u32 v9, v9, v10, v3
	v_sub_co_u32 v10, vcc_lo, v66, v8
	v_sub_co_ci_u32_e64 v11, null, v67, v9, vcc_lo
	v_cmp_lt_i64_e32 vcc_lo, v[54:55], v[10:11]
	v_cndmask_b32_e32 v11, v10, v54, vcc_lo
	v_max_i32_e32 v3, 0, v11
	v_cmp_lt_i32_e32 vcc_lo, 0, v11
	v_add_nc_u32_e32 v10, 31, v3
	s_and_b32 s16, s57, vcc_lo
	v_lshrrev_b32_e32 v10, 1, v10
	v_and_b32_e32 v12, 0x3ffffff0, v10
	v_mov_b32_e32 v10, 0
	v_max_i32_e32 v16, s45, v12
	s_and_saveexec_b32 s18, s16
	s_cbranch_execz .LBB4_1136
; %bb.999:                              ;   in Loop: Header=BB4_47 Depth=1
	v_add_co_u32 v18, vcc_lo, v8, v57
	v_add_co_ci_u32_e64 v19, null, v9, v58, vcc_lo
	v_mov_b32_e32 v17, 0
	s_mov_b32 s21, 1
	s_mov_b32 s20, -1
	s_mov_b32 s19, 0
	s_branch .LBB4_1001
.LBB4_1000:                             ;   in Loop: Header=BB4_1001 Depth=2
	s_or_b32 exec_lo, exec_lo, s16
	v_add_nc_u32_e32 v17, v16, v17
	s_xor_b32 s16, s20, -1
	v_mov_b32_e32 v10, s21
	s_mov_b32 s20, 0
	s_mov_b32 s21, 2
	v_cmp_ge_i32_e32 vcc_lo, v17, v3
	s_or_b32 s16, s16, vcc_lo
	s_and_b32 s16, exec_lo, s16
	s_or_b32 s19, s16, s19
	s_andn2_b32 exec_lo, exec_lo, s19
	s_cbranch_execz .LBB4_1135
.LBB4_1001:                             ;   Parent Loop BB4_47 Depth=1
                                        ; =>  This Loop Header: Depth=2
                                        ;       Child Loop BB4_1009 Depth 3
                                        ;       Child Loop BB4_1033 Depth 3
	;; [unrolled: 1-line block ×9, first 2 shown]
	s_and_saveexec_b32 s17, s4
	s_cbranch_execz .LBB4_1003
; %bb.1002:                             ;   in Loop: Header=BB4_1001 Depth=2
	s_trap 2
	ds_read_b128 v[8:11], v0
	v_ashrrev_i32_e32 v12, 31, v17
	s_waitcnt lgkmcnt(0)
	v_add_co_u32 v13, vcc_lo, v10, v18
	v_add_co_ci_u32_e64 v14, null, v11, v19, vcc_lo
	v_add_co_u32 v8, vcc_lo, v8, v18
	v_add_co_ci_u32_e64 v9, null, v9, v19, vcc_lo
	;; [unrolled: 2-line block ×3, first 2 shown]
	v_cmp_ne_u64_e32 vcc_lo, 0, v[10:11]
	v_add_co_u32 v8, s16, v8, v17
	v_add_co_ci_u32_e64 v9, null, v9, v12, s16
	v_cndmask_b32_e32 v11, 0, v14, vcc_lo
	v_cndmask_b32_e32 v10, 0, v13, vcc_lo
	ds_write_b64 v0, v[8:9]
	ds_write_b64 v0, v[10:11]
.LBB4_1003:                             ;   in Loop: Header=BB4_1001 Depth=2
	s_or_b32 exec_lo, exec_lo, s17
	v_and_b32_e32 v8, 4, v98
	s_mov_b32 s17, exec_lo
	v_cmpx_ne_u32_e32 0, v8
	s_cbranch_execz .LBB4_1025
; %bb.1004:                             ;   in Loop: Header=BB4_1001 Depth=2
	v_add_co_u32 v8, vcc_lo, v64, 2
	v_add_co_ci_u32_e64 v9, null, 0, v65, vcc_lo
	s_mov_b32 s23, exec_lo
	s_waitcnt vmcnt(0) lgkmcnt(1)
	v_cmpx_lt_u64_e64 v[48:49], v[8:9]
	s_cbranch_execz .LBB4_1016
; %bb.1005:                             ;   in Loop: Header=BB4_1001 Depth=2
	v_and_b32_e32 v10, 64, v98
	s_mov_b32 s61, 0
	s_mov_b32 s73, 0
                                        ; implicit-def: $sgpr62
                                        ; implicit-def: $sgpr63
                                        ; implicit-def: $sgpr72
	v_cmp_eq_u32_e32 vcc_lo, 0, v10
	s_branch .LBB4_1009
.LBB4_1006:                             ;   in Loop: Header=BB4_1009 Depth=3
	s_waitcnt vmcnt(0) lgkmcnt(0)
	v_cmp_ge_u64_e64 s16, v[48:49], v[8:9]
	s_or_b32 s76, s76, exec_lo
	s_orn2_b32 s75, s16, exec_lo
.LBB4_1007:                             ;   in Loop: Header=BB4_1009 Depth=3
	s_or_b32 exec_lo, exec_lo, s78
	s_andn2_b32 s16, s72, exec_lo
	s_and_b32 s72, s76, exec_lo
	s_andn2_b32 s63, s63, exec_lo
	s_and_b32 s75, s75, exec_lo
	s_or_b32 s72, s16, s72
	s_or_b32 s63, s63, s75
.LBB4_1008:                             ;   in Loop: Header=BB4_1009 Depth=3
	s_or_b32 exec_lo, exec_lo, s74
	s_and_b32 s16, exec_lo, s63
	s_or_b32 s61, s16, s61
	s_andn2_b32 s16, s62, exec_lo
	s_and_b32 s62, s72, exec_lo
	s_or_b32 s62, s16, s62
	s_andn2_b32 exec_lo, exec_lo, s61
	s_cbranch_execz .LBB4_1013
.LBB4_1009:                             ;   Parent Loop BB4_47 Depth=1
                                        ;     Parent Loop BB4_1001 Depth=2
                                        ; =>    This Inner Loop Header: Depth=3
	s_sleep 1
	s_waitcnt vmcnt(0) lgkmcnt(0)
	flat_load_dwordx2 v[48:49], v[32:33] glc dlc
	s_or_b32 s72, s72, exec_lo
	s_or_b32 s63, s63, exec_lo
                                        ; implicit-def: $vgpr10
	s_and_saveexec_b32 s74, vcc_lo
	s_cbranch_execz .LBB4_1008
; %bb.1010:                             ;   in Loop: Header=BB4_1009 Depth=3
	s_cmpk_lt_i32 s73, 0x270f
	s_mov_b32 s75, -1
	s_cselect_b32 s77, -1, 0
	s_cmpk_gt_i32 s73, 0x270e
	s_cbranch_scc0 .LBB4_1012
; %bb.1011:                             ;   in Loop: Header=BB4_1009 Depth=3
	s_trap 2
	ds_read_b64 v[10:11], v0
	s_andn2_b32 s73, s77, exec_lo
	s_mov_b32 s76, 0
	s_waitcnt vmcnt(0) lgkmcnt(0)
	s_waitcnt_vscnt null, 0x0
	flat_load_dword v10, v[10:11] glc dlc
	s_waitcnt vmcnt(0) lgkmcnt(0)
	buffer_gl1_inv
	buffer_gl0_inv
	v_cmp_eq_u32_e64 s16, 0, v10
	s_and_b32 s16, s16, exec_lo
	s_or_b32 s77, s73, s16
	s_mov_b32 s73, 0
	s_and_saveexec_b32 s78, s77
	s_cbranch_execz .LBB4_1007
	s_branch .LBB4_1006
.LBB4_1012:                             ;   in Loop: Header=BB4_1009 Depth=3
	s_add_i32 s73, s73, 1
	s_mov_b32 s76, -1
                                        ; implicit-def: $vgpr10
	s_and_saveexec_b32 s78, s77
	s_cbranch_execz .LBB4_1007
	s_branch .LBB4_1006
.LBB4_1013:                             ;   in Loop: Header=BB4_1001 Depth=2
	s_or_b32 exec_lo, exec_lo, s61
	s_xor_b32 s16, s62, -1
	s_and_saveexec_b32 s61, s16
	s_xor_b32 s16, exec_lo, s61
	s_cbranch_execz .LBB4_1015
; %bb.1014:                             ;   in Loop: Header=BB4_1001 Depth=2
	v_or_b32_e32 v98, 64, v98
	s_waitcnt vmcnt(0) lgkmcnt(0)
	s_waitcnt_vscnt null, 0x0
	ds_write_b32 v0, v10
	s_trap 2
.LBB4_1015:                             ;   in Loop: Header=BB4_1001 Depth=2
	s_or_b32 exec_lo, exec_lo, s16
.LBB4_1016:                             ;   in Loop: Header=BB4_1001 Depth=2
	s_or_b32 exec_lo, exec_lo, s23
	v_and_b32_e32 v10, 0x100, v98
	v_and_b32_e32 v14, 7, v64
	s_mov_b32 s16, -1
	;;#ASMSTART
	s_wakeup
	;;#ASMEND
	v_cmp_ne_u32_e32 vcc_lo, 0, v10
                                        ; implicit-def: $vgpr10_vgpr11
	s_and_saveexec_b32 s23, vcc_lo
	s_cbranch_execz .LBB4_1020
; %bb.1017:                             ;   in Loop: Header=BB4_1001 Depth=2
	v_mad_u64_u32 v[12:13], null, v14, 24, v[6:7]
	flat_load_dword v10, v[12:13]
	s_waitcnt vmcnt(0) lgkmcnt(0)
	v_cmp_eq_u32_e64 s16, 1, v10
	v_cmp_ne_u32_e32 vcc_lo, 1, v10
                                        ; implicit-def: $vgpr10_vgpr11
	s_and_saveexec_b32 s61, s16
	s_cbranch_execz .LBB4_1019
; %bb.1018:                             ;   in Loop: Header=BB4_1001 Depth=2
	flat_load_dword v10, v[12:13] offset:4 glc dlc
	s_waitcnt vmcnt(0) lgkmcnt(0)
	v_ashrrev_i32_e32 v11, 31, v10
.LBB4_1019:                             ;   in Loop: Header=BB4_1001 Depth=2
	s_or_b32 exec_lo, exec_lo, s61
	s_orn2_b32 s16, vcc_lo, exec_lo
.LBB4_1020:                             ;   in Loop: Header=BB4_1001 Depth=2
	s_or_b32 exec_lo, exec_lo, s23
	s_and_saveexec_b32 s23, s16
; %bb.1021:                             ;   in Loop: Header=BB4_1001 Depth=2
	v_mad_i64_i32 v[10:11], null, v14, v99, 0
; %bb.1022:                             ;   in Loop: Header=BB4_1001 Depth=2
	s_or_b32 exec_lo, exec_lo, s23
	v_add_co_u32 v10, vcc_lo, v34, v10
	v_and_b32_e32 v12, 0x2000, v98
	v_add_co_ci_u32_e64 v11, null, v35, v11, vcc_lo
	s_mov_b32 s16, exec_lo
	ds_write_b64 v0, v[10:11] offset:720
	v_cmpx_ne_u32_e32 0, v12
	s_cbranch_execz .LBB4_1024
; %bb.1023:                             ;   in Loop: Header=BB4_1001 Depth=2
	ds_read_b64 v[10:11], v0 offset:872
	s_waitcnt lgkmcnt(0)
	v_add_co_u32 v10, vcc_lo, v10, 1
	v_add_co_ci_u32_e64 v11, null, 0, v11, vcc_lo
	ds_write_b64 v0, v[10:11] offset:872
.LBB4_1024:                             ;   in Loop: Header=BB4_1001 Depth=2
	s_or_b32 exec_lo, exec_lo, s16
	v_mov_b32_e32 v65, v9
	v_mov_b32_e32 v64, v8
.LBB4_1025:                             ;   in Loop: Header=BB4_1001 Depth=2
	s_or_b32 exec_lo, exec_lo, s17
	s_and_saveexec_b32 s16, s6
	s_cbranch_execz .LBB4_1044
; %bb.1026:                             ;   in Loop: Header=BB4_1001 Depth=2
	s_and_saveexec_b32 s17, s29
	s_xor_b32 s17, exec_lo, s17
	s_cbranch_execz .LBB4_1041
; %bb.1027:                             ;   in Loop: Header=BB4_1001 Depth=2
	s_and_saveexec_b32 s23, s11
	s_cbranch_execz .LBB4_1040
; %bb.1028:                             ;   in Loop: Header=BB4_1001 Depth=2
	s_mov_b32 s62, exec_lo
	s_mov_b32 s61, exec_lo
	v_mbcnt_lo_u32_b32 v8, s62, 0
	s_waitcnt vmcnt(0) lgkmcnt(0)
	s_waitcnt_vscnt null, 0x0
	buffer_gl1_inv
	buffer_gl0_inv
	v_cmpx_eq_u32_e32 0, v8
	s_cbranch_execz .LBB4_1030
; %bb.1029:                             ;   in Loop: Header=BB4_1001 Depth=2
	s_bcnt1_i32_b32 s62, s62
	v_mov_b32_e32 v9, v2
	v_mov_b32_e32 v8, s62
	ds_add_u64 v0, v[8:9]
	s_trap 2
.LBB4_1030:                             ;   in Loop: Header=BB4_1001 Depth=2
	s_or_b32 exec_lo, exec_lo, s61
	s_trap 2
	ds_read_b64 v[8:9], v0
	s_waitcnt lgkmcnt(0)
	buffer_gl0_inv
	v_add_co_u32 v38, vcc_lo, v38, v101
	v_add_co_ci_u32_e64 v39, null, 0, v39, vcc_lo
	s_mov_b32 s61, exec_lo
	v_cmpx_lt_u64_e64 v[8:9], v[38:39]
	s_cbranch_execz .LBB4_1039
; %bb.1031:                             ;   in Loop: Header=BB4_1001 Depth=2
	s_mov_b32 s62, 0
	s_mov_b32 s73, 0
                                        ; implicit-def: $sgpr63
                                        ; implicit-def: $sgpr72
	s_inst_prefetch 0x1
	s_branch .LBB4_1033
	.p2align	6
.LBB4_1032:                             ;   in Loop: Header=BB4_1033 Depth=3
	s_or_b32 exec_lo, exec_lo, s75
	s_and_b32 s74, exec_lo, s76
	s_or_b32 s62, s74, s62
	s_andn2_b32 s63, s63, exec_lo
	s_and_b32 s74, s72, exec_lo
	s_or_b32 s63, s63, s74
	s_andn2_b32 exec_lo, exec_lo, s62
	s_cbranch_execz .LBB4_1037
.LBB4_1033:                             ;   Parent Loop BB4_47 Depth=1
                                        ;     Parent Loop BB4_1001 Depth=2
                                        ; =>    This Inner Loop Header: Depth=3
	s_add_i32 s73, s73, 1
	s_cmpk_lg_i32 s73, 0x2710
	s_cselect_b32 s74, -1, 0
	s_and_b32 vcc_lo, exec_lo, s74
	s_cbranch_vccz .LBB4_1035
; %bb.1034:                             ;   in Loop: Header=BB4_1033 Depth=3
	s_mov_b32 s76, -1
	s_or_b32 s72, s72, exec_lo
	s_and_saveexec_b32 s75, s74
	s_cbranch_execz .LBB4_1032
	s_branch .LBB4_1036
	.p2align	6
.LBB4_1035:                             ;   in Loop: Header=BB4_1033 Depth=3
	s_trap 2
	ds_read_b64 v[8:9], v0
	s_andn2_b32 s74, s74, exec_lo
	s_mov_b32 s73, 0
	s_waitcnt lgkmcnt(0)
	flat_load_dword v8, v[8:9] glc dlc
	s_waitcnt vmcnt(0) lgkmcnt(0)
	buffer_gl1_inv
	buffer_gl0_inv
	v_cmp_eq_u32_e32 vcc_lo, 0, v8
	s_and_b32 s75, vcc_lo, exec_lo
	s_or_b32 s74, s74, s75
	s_mov_b32 s76, -1
	s_or_b32 s72, s72, exec_lo
	s_and_saveexec_b32 s75, s74
	s_cbranch_execz .LBB4_1032
.LBB4_1036:                             ;   in Loop: Header=BB4_1033 Depth=3
	s_sleep 1
	s_trap 2
	ds_read_b64 v[8:9], v0
	s_waitcnt lgkmcnt(0)
	buffer_gl0_inv
	s_andn2_b32 s72, s72, exec_lo
	v_cmp_ge_u64_e32 vcc_lo, v[8:9], v[38:39]
	s_orn2_b32 s76, vcc_lo, exec_lo
	s_branch .LBB4_1032
.LBB4_1037:                             ;   in Loop: Header=BB4_1001 Depth=2
	s_inst_prefetch 0x2
	s_or_b32 exec_lo, exec_lo, s62
	s_and_saveexec_b32 s62, s63
	s_xor_b32 s62, exec_lo, s62
	s_cbranch_execz .LBB4_1039
; %bb.1038:                             ;   in Loop: Header=BB4_1001 Depth=2
	ds_write_b32 v0, v113
	s_trap 2
.LBB4_1039:                             ;   in Loop: Header=BB4_1001 Depth=2
	s_or_b32 exec_lo, exec_lo, s61
	;;#ASMSTART
	s_wakeup
	;;#ASMEND
.LBB4_1040:                             ;   in Loop: Header=BB4_1001 Depth=2
	s_or_b32 exec_lo, exec_lo, s23
.LBB4_1041:                             ;   in Loop: Header=BB4_1001 Depth=2
	s_andn2_saveexec_b32 s17, s17
	s_cbranch_execz .LBB4_1043
; %bb.1042:                             ;   in Loop: Header=BB4_1001 Depth=2
	s_waitcnt vmcnt(0) lgkmcnt(0)
	s_waitcnt_vscnt null, 0x0
	buffer_gl1_inv
	buffer_gl0_inv
	s_barrier
.LBB4_1043:                             ;   in Loop: Header=BB4_1001 Depth=2
	s_or_b32 exec_lo, exec_lo, s17
.LBB4_1044:                             ;   in Loop: Header=BB4_1001 Depth=2
	s_or_b32 exec_lo, exec_lo, s16
	s_trap 2
	ds_read_b32 v12, v0
	v_and_b32_e32 v8, 0x4000, v98
	s_xor_b32 s16, s5, -1
	v_cmp_ne_u32_e32 vcc_lo, 0, v8
	s_and_b32 s17, s16, vcc_lo
	s_and_saveexec_b32 s16, s17
	s_cbranch_execz .LBB4_1063
; %bb.1045:                             ;   in Loop: Header=BB4_1001 Depth=2
	s_and_saveexec_b32 s17, s29
	s_xor_b32 s17, exec_lo, s17
	s_cbranch_execz .LBB4_1060
; %bb.1046:                             ;   in Loop: Header=BB4_1001 Depth=2
	s_and_saveexec_b32 s23, s11
	s_cbranch_execz .LBB4_1059
; %bb.1047:                             ;   in Loop: Header=BB4_1001 Depth=2
	s_mov_b32 s62, exec_lo
	s_mov_b32 s61, exec_lo
	v_mbcnt_lo_u32_b32 v8, s62, 0
	s_waitcnt vmcnt(0) lgkmcnt(0)
	s_waitcnt_vscnt null, 0x0
	buffer_gl1_inv
	buffer_gl0_inv
	v_cmpx_eq_u32_e32 0, v8
	s_cbranch_execz .LBB4_1049
; %bb.1048:                             ;   in Loop: Header=BB4_1001 Depth=2
	s_bcnt1_i32_b32 s62, s62
	v_mov_b32_e32 v9, v2
	v_mov_b32_e32 v8, s62
	ds_add_u64 v0, v[8:9]
	s_trap 2
.LBB4_1049:                             ;   in Loop: Header=BB4_1001 Depth=2
	s_or_b32 exec_lo, exec_lo, s61
	s_trap 2
	ds_read_b64 v[8:9], v0
	s_waitcnt lgkmcnt(0)
	buffer_gl0_inv
	v_add_co_u32 v38, vcc_lo, v38, v101
	v_add_co_ci_u32_e64 v39, null, 0, v39, vcc_lo
	s_mov_b32 s61, exec_lo
	v_cmpx_lt_u64_e64 v[8:9], v[38:39]
	s_cbranch_execz .LBB4_1058
; %bb.1050:                             ;   in Loop: Header=BB4_1001 Depth=2
	s_mov_b32 s62, 0
	s_mov_b32 s73, 0
                                        ; implicit-def: $sgpr63
                                        ; implicit-def: $sgpr72
	s_inst_prefetch 0x1
	s_branch .LBB4_1052
	.p2align	6
.LBB4_1051:                             ;   in Loop: Header=BB4_1052 Depth=3
	s_or_b32 exec_lo, exec_lo, s75
	s_and_b32 s74, exec_lo, s76
	s_or_b32 s62, s74, s62
	s_andn2_b32 s63, s63, exec_lo
	s_and_b32 s74, s72, exec_lo
	s_or_b32 s63, s63, s74
	s_andn2_b32 exec_lo, exec_lo, s62
	s_cbranch_execz .LBB4_1056
.LBB4_1052:                             ;   Parent Loop BB4_47 Depth=1
                                        ;     Parent Loop BB4_1001 Depth=2
                                        ; =>    This Inner Loop Header: Depth=3
	s_add_i32 s73, s73, 1
	s_cmpk_lg_i32 s73, 0x2710
	s_cselect_b32 s74, -1, 0
	s_and_b32 vcc_lo, exec_lo, s74
	s_cbranch_vccz .LBB4_1054
; %bb.1053:                             ;   in Loop: Header=BB4_1052 Depth=3
	s_mov_b32 s76, -1
	s_or_b32 s72, s72, exec_lo
	s_and_saveexec_b32 s75, s74
	s_cbranch_execz .LBB4_1051
	s_branch .LBB4_1055
	.p2align	6
.LBB4_1054:                             ;   in Loop: Header=BB4_1052 Depth=3
	s_trap 2
	ds_read_b64 v[8:9], v0
	s_andn2_b32 s74, s74, exec_lo
	s_mov_b32 s73, 0
	s_waitcnt lgkmcnt(0)
	flat_load_dword v8, v[8:9] glc dlc
	s_waitcnt vmcnt(0) lgkmcnt(0)
	buffer_gl1_inv
	buffer_gl0_inv
	v_cmp_eq_u32_e32 vcc_lo, 0, v8
	s_and_b32 s75, vcc_lo, exec_lo
	s_or_b32 s74, s74, s75
	s_mov_b32 s76, -1
	s_or_b32 s72, s72, exec_lo
	s_and_saveexec_b32 s75, s74
	s_cbranch_execz .LBB4_1051
.LBB4_1055:                             ;   in Loop: Header=BB4_1052 Depth=3
	s_sleep 1
	s_trap 2
	ds_read_b64 v[8:9], v0
	s_waitcnt lgkmcnt(0)
	buffer_gl0_inv
	s_andn2_b32 s72, s72, exec_lo
	v_cmp_ge_u64_e32 vcc_lo, v[8:9], v[38:39]
	s_orn2_b32 s76, vcc_lo, exec_lo
	s_branch .LBB4_1051
.LBB4_1056:                             ;   in Loop: Header=BB4_1001 Depth=2
	s_inst_prefetch 0x2
	s_or_b32 exec_lo, exec_lo, s62
	s_and_saveexec_b32 s62, s63
	s_xor_b32 s62, exec_lo, s62
	s_cbranch_execz .LBB4_1058
; %bb.1057:                             ;   in Loop: Header=BB4_1001 Depth=2
	ds_write_b32 v0, v113
	s_trap 2
.LBB4_1058:                             ;   in Loop: Header=BB4_1001 Depth=2
	s_or_b32 exec_lo, exec_lo, s61
	;;#ASMSTART
	s_wakeup
	;;#ASMEND
.LBB4_1059:                             ;   in Loop: Header=BB4_1001 Depth=2
	s_or_b32 exec_lo, exec_lo, s23
.LBB4_1060:                             ;   in Loop: Header=BB4_1001 Depth=2
	s_andn2_saveexec_b32 s17, s17
	s_cbranch_execz .LBB4_1062
; %bb.1061:                             ;   in Loop: Header=BB4_1001 Depth=2
	s_waitcnt vmcnt(0) lgkmcnt(0)
	s_waitcnt_vscnt null, 0x0
	buffer_gl1_inv
	buffer_gl0_inv
	s_barrier
.LBB4_1062:                             ;   in Loop: Header=BB4_1001 Depth=2
	s_or_b32 exec_lo, exec_lo, s17
.LBB4_1063:                             ;   in Loop: Header=BB4_1001 Depth=2
	s_or_b32 exec_lo, exec_lo, s16
	s_trap 2
	ds_read_b64 v[8:9], v0
	v_sub_nc_u32_e32 v10, v3, v17
	v_min_i32_e32 v16, v16, v10
	s_waitcnt lgkmcnt(0)
	v_cmp_eq_u64_e32 vcc_lo, 0, v[8:9]
	s_cbranch_vccnz .LBB4_1071
; %bb.1064:                             ;   in Loop: Header=BB4_1001 Depth=2
	s_trap 2
	ds_read_b64 v[10:11], v0
	s_waitcnt lgkmcnt(0)
	v_cmp_eq_u64_e32 vcc_lo, 0, v[10:11]
	s_cbranch_vccnz .LBB4_1071
; %bb.1065:                             ;   in Loop: Header=BB4_1001 Depth=2
	s_mov_b32 s16, -1
	s_and_saveexec_b32 s17, s13
	s_cbranch_execz .LBB4_1067
; %bb.1066:                             ;   in Loop: Header=BB4_1001 Depth=2
	ds_read_b32 v13, v0 offset:720
	s_waitcnt lgkmcnt(0)
	v_and_b32_e32 v13, 15, v13
	v_cmp_eq_u32_e32 vcc_lo, 0, v13
	s_orn2_b32 s16, vcc_lo, exec_lo
.LBB4_1067:                             ;   in Loop: Header=BB4_1001 Depth=2
	s_or_b32 exec_lo, exec_lo, s17
	s_and_saveexec_b32 s17, s12
	s_cbranch_execz .LBB4_1069
; %bb.1068:                             ;   in Loop: Header=BB4_1001 Depth=2
	ds_read_b32 v13, v0 offset:784
	s_waitcnt lgkmcnt(0)
	v_and_b32_e32 v13, 15, v13
	v_cmp_eq_u32_e32 vcc_lo, 0, v13
	s_and_b32 s23, s16, vcc_lo
	s_andn2_b32 s16, s16, exec_lo
	s_and_b32 s23, s23, exec_lo
	s_or_b32 s16, s16, s23
.LBB4_1069:                             ;   in Loop: Header=BB4_1001 Depth=2
	s_or_b32 exec_lo, exec_lo, s17
	v_cmp_eq_u32_e32 vcc_lo, 0, v12
	s_xor_b32 s16, s16, -1
	v_mov_b32_e32 v12, 0
	v_cndmask_b32_e64 v13, 0, 1, s16
	v_mov_b32_e32 v14, v0
	v_cndmask_b32_e32 v20, 0, v16, vcc_lo
	s_mov_b32 s16, -1
	v_cmp_ne_u32_e32 vcc_lo, 0, v13
	v_mov_b32_e32 v13, v20
	s_cbranch_vccz .LBB4_1076
; %bb.1070:                             ;   in Loop: Header=BB4_1001 Depth=2
	s_and_saveexec_b32 s17, s16
	s_cbranch_execnz .LBB4_1087
	s_branch .LBB4_1095
.LBB4_1071:                             ;   in Loop: Header=BB4_1001 Depth=2
	s_mov_b32 s16, 0
	s_and_saveexec_b32 s17, s6
	s_cbranch_execnz .LBB4_1096
.LBB4_1072:                             ;   in Loop: Header=BB4_1001 Depth=2
	s_or_b32 exec_lo, exec_lo, s17
	s_and_saveexec_b32 s17, s15
	s_xor_b32 s17, exec_lo, s17
	s_cbranch_execz .LBB4_1114
.LBB4_1073:                             ;   in Loop: Header=BB4_1001 Depth=2
	v_and_b32_e32 v8, 16, v98
	v_cmp_ne_u32_e32 vcc_lo, 0, v8
	s_and_b32 s23, vcc_lo, s16
	s_and_saveexec_b32 s16, s23
	s_cbranch_execz .LBB4_1075
; %bb.1074:                             ;   in Loop: Header=BB4_1001 Depth=2
	s_waitcnt vmcnt(0) lgkmcnt(0)
	s_waitcnt_vscnt null, 0x0
	buffer_gl1_inv
	buffer_gl0_inv
.LBB4_1075:                             ;   in Loop: Header=BB4_1001 Depth=2
	s_or_b32 exec_lo, exec_lo, s16
	s_andn2_saveexec_b32 s16, s17
	s_cbranch_execz .LBB4_1133
	s_branch .LBB4_1115
.LBB4_1076:                             ;   in Loop: Header=BB4_1001 Depth=2
	v_ashrrev_i32_e32 v12, 31, v20
	s_mov_b32 s17, exec_lo
	v_lshrrev_b32_e32 v12, 21, v12
	v_add_nc_u32_e32 v12, v20, v12
	v_ashrrev_i32_e32 v22, 11, v12
	v_sub_nc_u32_e32 v21, v22, v103
	v_cmpx_lt_i32_e32 0, v21
	s_cbranch_execz .LBB4_1080
; %bb.1077:                             ;   in Loop: Header=BB4_1001 Depth=2
	v_mov_b32_e32 v13, v11
	v_mov_b32_e32 v15, v9
	;; [unrolled: 1-line block ×4, first 2 shown]
	s_mov_b32 s23, 0
	s_inst_prefetch 0x1
	.p2align	6
.LBB4_1078:                             ;   Parent Loop BB4_47 Depth=1
                                        ;     Parent Loop BB4_1001 Depth=2
                                        ; =>    This Inner Loop Header: Depth=3
	v_add_co_u32 v70, vcc_lo, v43, v14
	v_add_co_ci_u32_e64 v71, null, 0, v15, vcc_lo
	v_sub_nc_u32_e32 v21, v21, v101
	s_clause 0x3
	global_load_dwordx4 v[66:69], v[70:71], off slc
	global_load_dwordx4 v[80:83], v[70:71], off offset:512 slc
	global_load_dwordx4 v[84:87], v[70:71], off offset:1024 slc
	;; [unrolled: 1-line block ×3, first 2 shown]
	v_add_co_u32 v70, vcc_lo, v43, v12
	v_add_co_ci_u32_e64 v71, null, 0, v13, vcc_lo
	v_add_co_u32 v14, vcc_lo, v14, v116
	v_add_co_ci_u32_e64 v15, null, 0, v15, vcc_lo
	v_add_co_u32 v12, vcc_lo, v12, v116
	v_cmp_gt_i32_e64 s16, 1, v21
	v_add_co_ci_u32_e64 v13, null, 0, v13, vcc_lo
	s_waitcnt vmcnt(3)
	global_store_dwordx4 v[70:71], v[66:69], off glc slc
	s_waitcnt vmcnt(2)
	global_store_dwordx4 v[70:71], v[80:83], off offset:512 glc slc
	s_waitcnt vmcnt(1)
	global_store_dwordx4 v[70:71], v[84:87], off offset:1024 glc slc
	s_waitcnt vmcnt(0)
	global_store_dwordx4 v[70:71], v[57:60], off offset:1536 glc slc
	s_or_b32 s23, s16, s23
	s_andn2_b32 exec_lo, exec_lo, s23
	s_cbranch_execnz .LBB4_1078
; %bb.1079:                             ;   in Loop: Header=BB4_1001 Depth=2
	s_inst_prefetch 0x2
	s_or_b32 exec_lo, exec_lo, s23
.LBB4_1080:                             ;   in Loop: Header=BB4_1001 Depth=2
	s_or_b32 exec_lo, exec_lo, s17
	v_lshlrev_b32_e32 v15, 11, v22
	v_mov_b32_e32 v12, 0
	s_mov_b32 s16, 0
	s_mov_b32 s23, exec_lo
                                        ; implicit-def: $vgpr13
                                        ; implicit-def: $vgpr14
	v_cmpx_ne_u32_e64 v20, v15
	s_cbranch_execz .LBB4_1086
; %bb.1081:                             ;   in Loop: Header=BB4_1001 Depth=2
	v_lshlrev_b32_e32 v12, 5, v21
	v_sub_nc_u32_e32 v21, v20, v15
	s_mov_b32 s61, exec_lo
	v_sub_nc_u32_e32 v12, v102, v12
	v_ashrrev_i32_e32 v14, 31, v21
	v_ashrrev_i32_e32 v13, 31, v12
	v_lshrrev_b32_e32 v14, 23, v14
	v_lshrrev_b32_e32 v13, 27, v13
	v_add_nc_u32_e32 v23, v21, v14
	v_add_nc_u32_e32 v13, v12, v13
	v_ashrrev_i32_e32 v67, 9, v23
	v_and_b32_e32 v22, 0xffffffe0, v13
	v_ashrrev_i32_e32 v66, 5, v13
	v_sub_nc_u32_e32 v14, v12, v22
	v_and_b32_e32 v12, 0xfffffe00, v23
	v_lshlrev_b32_e32 v22, 4, v14
	v_sub_nc_u32_e32 v13, v21, v12
	v_lshl_add_u32 v23, v66, 9, v22
	v_cmp_lt_i32_e32 vcc_lo, 15, v13
	v_sub_nc_u32_e32 v22, v21, v23
	v_add_co_ci_u32_e64 v67, null, 0, v67, vcc_lo
	v_sub_nc_u32_e32 v21, v67, v66
	v_cmpx_lt_i32_e32 15, v22
	s_cbranch_execz .LBB4_1085
; %bb.1082:                             ;   in Loop: Header=BB4_1001 Depth=2
	v_add_nc_u32_e32 v23, v23, v15
	s_mov_b32 s62, 0
	v_ashrrev_i32_e32 v66, 31, v23
	.p2align	6
.LBB4_1083:                             ;   Parent Loop BB4_47 Depth=1
                                        ;     Parent Loop BB4_1001 Depth=2
                                        ; =>    This Inner Loop Header: Depth=3
	v_add_co_u32 v67, s16, v8, v23
	v_add_co_ci_u32_e64 v68, null, v9, v66, s16
	v_sub_nc_u32_e32 v22, v22, v117
	v_add_co_u32 v80, s16, v10, v23
	global_load_dwordx4 v[67:70], v[67:68], off slc
	v_add_co_ci_u32_e64 v81, null, v11, v66, s16
	v_cmp_gt_i32_e64 s16, 16, v22
	v_add_co_u32 v23, s17, v23, v117
	v_sub_nc_u32_e32 v21, v21, v101
	v_add_co_ci_u32_e64 v66, null, 0, v66, s17
	s_or_b32 s62, s16, s62
	s_waitcnt vmcnt(0)
	global_store_dwordx4 v[80:81], v[67:70], off glc slc
	s_andn2_b32 exec_lo, exec_lo, s62
	s_cbranch_execnz .LBB4_1083
; %bb.1084:                             ;   in Loop: Header=BB4_1001 Depth=2
	s_or_b32 exec_lo, exec_lo, s62
.LBB4_1085:                             ;   in Loop: Header=BB4_1001 Depth=2
	s_or_b32 exec_lo, exec_lo, s61
	v_and_b32_e32 v22, 15, v20
	v_cmp_lt_i32_e64 s16, 0, v21
	v_sub_nc_u32_e32 v23, v13, v22
	v_cndmask_b32_e64 v66, 0, v101, s16
	v_cndmask_b32_e32 v13, v13, v22, vcc_lo
	v_cndmask_b32_e32 v22, 0, v23, vcc_lo
	v_sub_nc_u32_e32 v21, v66, v21
	v_cmp_ne_u32_e32 vcc_lo, 0, v13
	v_add3_u32 v12, v12, v15, v22
	v_lshl_add_u32 v14, v21, 5, v14
	s_and_b32 s16, vcc_lo, exec_lo
.LBB4_1086:                             ;   in Loop: Header=BB4_1001 Depth=2
	s_or_b32 exec_lo, exec_lo, s23
	s_and_saveexec_b32 s17, s16
	s_cbranch_execz .LBB4_1095
.LBB4_1087:                             ;   in Loop: Header=BB4_1001 Depth=2
	v_ashrrev_i32_e32 v15, 31, v14
	v_ashrrev_i32_e32 v21, 31, v13
	s_mov_b32 s16, exec_lo
	v_lshrrev_b32_e32 v15, 27, v15
	v_lshrrev_b32_e32 v21, 23, v21
	v_add_nc_u32_e32 v23, v14, v15
	v_add_nc_u32_e32 v21, v13, v21
	v_ashrrev_i32_e32 v15, 5, v23
	v_ashrrev_i32_e32 v22, 9, v21
	v_sub_nc_u32_e32 v21, v22, v15
	v_cmpx_lt_i32_e32 0, v21
	s_cbranch_execz .LBB4_1091
; %bb.1088:                             ;   in Loop: Header=BB4_1001 Depth=2
	v_and_b32_e32 v23, 0xffffffe0, v23
	v_lshlrev_b32_e32 v66, 9, v15
	s_mov_b32 s23, 0
	v_sub_nc_u32_e32 v23, v14, v23
	v_add3_u32 v23, v12, v23, v66
	v_ashrrev_i32_e32 v66, 31, v23
.LBB4_1089:                             ;   Parent Loop BB4_47 Depth=1
                                        ;     Parent Loop BB4_1001 Depth=2
                                        ; =>    This Inner Loop Header: Depth=3
	v_add_co_u32 v67, vcc_lo, v23, v8
	v_add_co_ci_u32_e64 v68, null, v66, v9, vcc_lo
	v_sub_nc_u32_e32 v21, v21, v101
	s_clause 0xf
	flat_load_ubyte v69, v[67:68] slc
	flat_load_ubyte v70, v[67:68] offset:32 slc
	flat_load_ubyte v71, v[67:68] offset:64 slc
	;; [unrolled: 1-line block ×15, first 2 shown]
	v_add_co_u32 v67, vcc_lo, v23, v10
	v_add_co_ci_u32_e64 v68, null, v66, v11, vcc_lo
	v_add_co_u32 v8, vcc_lo, v8, v117
	v_add_co_ci_u32_e64 v9, null, 0, v9, vcc_lo
	;; [unrolled: 2-line block ×3, first 2 shown]
	v_cmp_gt_i32_e32 vcc_lo, 1, v21
	s_waitcnt vmcnt(15) lgkmcnt(15)
	flat_store_byte v[67:68], v69 glc slc
	s_waitcnt vmcnt(14) lgkmcnt(15)
	flat_store_byte v[67:68], v70 offset:32 glc slc
	s_waitcnt vmcnt(13) lgkmcnt(15)
	flat_store_byte v[67:68], v71 offset:64 glc slc
	;; [unrolled: 2-line block ×15, first 2 shown]
	s_or_b32 s23, vcc_lo, s23
	s_andn2_b32 exec_lo, exec_lo, s23
	s_cbranch_execnz .LBB4_1089
; %bb.1090:                             ;   in Loop: Header=BB4_1001 Depth=2
	s_or_b32 exec_lo, exec_lo, s23
.LBB4_1091:                             ;   in Loop: Header=BB4_1001 Depth=2
	s_or_b32 exec_lo, exec_lo, s16
	v_lshlrev_b32_e32 v8, 9, v22
	v_cmp_ne_u32_e32 vcc_lo, v13, v8
	s_and_b32 exec_lo, exec_lo, vcc_lo
	s_cbranch_execz .LBB4_1095
; %bb.1092:                             ;   in Loop: Header=BB4_1001 Depth=2
	v_lshlrev_b32_e32 v9, 5, v15
	v_lshlrev_b32_e32 v10, 5, v21
	v_sub_nc_u32_e32 v9, v14, v9
	v_sub_nc_u32_e32 v9, v9, v10
	v_add_nc_u32_e32 v11, v8, v9
	v_sub_nc_u32_e32 v10, v13, v11
	v_cmp_lt_i32_e32 vcc_lo, 0, v10
	s_and_b32 exec_lo, exec_lo, vcc_lo
	s_cbranch_execz .LBB4_1095
; %bb.1093:                             ;   in Loop: Header=BB4_1001 Depth=2
	s_trap 2
	ds_read_b64 v[8:9], v0
	v_add_nc_u32_e32 v11, v11, v12
	s_mov_b32 s23, 0
	v_ashrrev_i32_e32 v12, 31, v11
	.p2align	6
.LBB4_1094:                             ;   Parent Loop BB4_47 Depth=1
                                        ;     Parent Loop BB4_1001 Depth=2
                                        ; =>    This Inner Loop Header: Depth=3
	s_waitcnt lgkmcnt(0)
	v_add_co_u32 v13, vcc_lo, v8, v11
	v_add_co_ci_u32_e64 v14, null, v9, v12, vcc_lo
	v_sub_nc_u32_e32 v10, v10, v112
	v_add_co_u32 v11, s16, v11, v112
	flat_load_ubyte v15, v[13:14] slc
	v_add_co_ci_u32_e64 v12, null, 0, v12, s16
	v_cmp_gt_i32_e32 vcc_lo, 1, v10
	s_or_b32 s23, vcc_lo, s23
	s_waitcnt vmcnt(0) lgkmcnt(0)
	flat_store_byte v[13:14], v15 glc slc
	s_andn2_b32 exec_lo, exec_lo, s23
	s_cbranch_execnz .LBB4_1094
.LBB4_1095:                             ;   in Loop: Header=BB4_1001 Depth=2
	s_or_b32 exec_lo, exec_lo, s17
	v_cmp_lt_i32_e64 s16, 0, v20
	s_and_saveexec_b32 s17, s6
	s_cbranch_execz .LBB4_1072
.LBB4_1096:                             ;   in Loop: Header=BB4_1001 Depth=2
	s_and_saveexec_b32 s23, s29
	s_xor_b32 s23, exec_lo, s23
	s_cbranch_execz .LBB4_1111
; %bb.1097:                             ;   in Loop: Header=BB4_1001 Depth=2
	s_and_saveexec_b32 s61, s11
	s_cbranch_execz .LBB4_1110
; %bb.1098:                             ;   in Loop: Header=BB4_1001 Depth=2
	s_mov_b32 s63, exec_lo
	s_mov_b32 s62, exec_lo
	v_mbcnt_lo_u32_b32 v8, s63, 0
	s_waitcnt vmcnt(0) lgkmcnt(0)
	s_waitcnt_vscnt null, 0x0
	buffer_gl1_inv
	buffer_gl0_inv
	v_cmpx_eq_u32_e32 0, v8
	s_cbranch_execz .LBB4_1100
; %bb.1099:                             ;   in Loop: Header=BB4_1001 Depth=2
	s_bcnt1_i32_b32 s63, s63
	v_mov_b32_e32 v9, v2
	v_mov_b32_e32 v8, s63
	ds_add_u64 v0, v[8:9]
	s_trap 2
.LBB4_1100:                             ;   in Loop: Header=BB4_1001 Depth=2
	s_or_b32 exec_lo, exec_lo, s62
	s_trap 2
	ds_read_b64 v[8:9], v0
	s_waitcnt lgkmcnt(0)
	buffer_gl0_inv
	v_add_co_u32 v38, vcc_lo, v38, v101
	v_add_co_ci_u32_e64 v39, null, 0, v39, vcc_lo
	s_mov_b32 s62, exec_lo
	v_cmpx_lt_u64_e64 v[8:9], v[38:39]
	s_cbranch_execz .LBB4_1109
; %bb.1101:                             ;   in Loop: Header=BB4_1001 Depth=2
	s_mov_b32 s63, 0
	s_mov_b32 s74, 0
                                        ; implicit-def: $sgpr72
                                        ; implicit-def: $sgpr73
	s_inst_prefetch 0x1
	s_branch .LBB4_1103
	.p2align	6
.LBB4_1102:                             ;   in Loop: Header=BB4_1103 Depth=3
	s_or_b32 exec_lo, exec_lo, s76
	s_and_b32 s75, exec_lo, s77
	s_or_b32 s63, s75, s63
	s_andn2_b32 s72, s72, exec_lo
	s_and_b32 s75, s73, exec_lo
	s_or_b32 s72, s72, s75
	s_andn2_b32 exec_lo, exec_lo, s63
	s_cbranch_execz .LBB4_1107
.LBB4_1103:                             ;   Parent Loop BB4_47 Depth=1
                                        ;     Parent Loop BB4_1001 Depth=2
                                        ; =>    This Inner Loop Header: Depth=3
	s_add_i32 s74, s74, 1
	s_cmpk_lg_i32 s74, 0x2710
	s_cselect_b32 s75, -1, 0
	s_and_b32 vcc_lo, exec_lo, s75
	s_cbranch_vccz .LBB4_1105
; %bb.1104:                             ;   in Loop: Header=BB4_1103 Depth=3
	s_mov_b32 s77, -1
	s_or_b32 s73, s73, exec_lo
	s_and_saveexec_b32 s76, s75
	s_cbranch_execz .LBB4_1102
	s_branch .LBB4_1106
	.p2align	6
.LBB4_1105:                             ;   in Loop: Header=BB4_1103 Depth=3
	s_trap 2
	ds_read_b64 v[8:9], v0
	s_andn2_b32 s75, s75, exec_lo
	s_mov_b32 s74, 0
	s_waitcnt lgkmcnt(0)
	flat_load_dword v8, v[8:9] glc dlc
	s_waitcnt vmcnt(0) lgkmcnt(0)
	buffer_gl1_inv
	buffer_gl0_inv
	v_cmp_eq_u32_e32 vcc_lo, 0, v8
	s_and_b32 s76, vcc_lo, exec_lo
	s_or_b32 s75, s75, s76
	s_mov_b32 s77, -1
	s_or_b32 s73, s73, exec_lo
	s_and_saveexec_b32 s76, s75
	s_cbranch_execz .LBB4_1102
.LBB4_1106:                             ;   in Loop: Header=BB4_1103 Depth=3
	s_sleep 1
	s_trap 2
	ds_read_b64 v[8:9], v0
	s_waitcnt lgkmcnt(0)
	buffer_gl0_inv
	s_andn2_b32 s73, s73, exec_lo
	v_cmp_ge_u64_e32 vcc_lo, v[8:9], v[38:39]
	s_orn2_b32 s77, vcc_lo, exec_lo
	s_branch .LBB4_1102
.LBB4_1107:                             ;   in Loop: Header=BB4_1001 Depth=2
	s_inst_prefetch 0x2
	s_or_b32 exec_lo, exec_lo, s63
	s_and_saveexec_b32 s63, s72
	s_xor_b32 s63, exec_lo, s63
	s_cbranch_execz .LBB4_1109
; %bb.1108:                             ;   in Loop: Header=BB4_1001 Depth=2
	ds_write_b32 v0, v113
	s_trap 2
.LBB4_1109:                             ;   in Loop: Header=BB4_1001 Depth=2
	s_or_b32 exec_lo, exec_lo, s62
	;;#ASMSTART
	s_wakeup
	;;#ASMEND
.LBB4_1110:                             ;   in Loop: Header=BB4_1001 Depth=2
	s_or_b32 exec_lo, exec_lo, s61
.LBB4_1111:                             ;   in Loop: Header=BB4_1001 Depth=2
	s_andn2_saveexec_b32 s23, s23
	s_cbranch_execz .LBB4_1113
; %bb.1112:                             ;   in Loop: Header=BB4_1001 Depth=2
	s_waitcnt vmcnt(0) lgkmcnt(0)
	s_waitcnt_vscnt null, 0x0
	buffer_gl1_inv
	buffer_gl0_inv
	s_barrier
.LBB4_1113:                             ;   in Loop: Header=BB4_1001 Depth=2
	s_or_b32 exec_lo, exec_lo, s23
	s_or_b32 exec_lo, exec_lo, s17
	s_and_saveexec_b32 s17, s15
	s_xor_b32 s17, exec_lo, s17
	s_cbranch_execnz .LBB4_1073
.LBB4_1114:                             ;   in Loop: Header=BB4_1001 Depth=2
	s_andn2_saveexec_b32 s16, s17
	s_cbranch_execz .LBB4_1133
.LBB4_1115:                             ;   in Loop: Header=BB4_1001 Depth=2
	s_and_saveexec_b32 s17, s29
	s_xor_b32 s17, exec_lo, s17
	s_cbranch_execz .LBB4_1130
; %bb.1116:                             ;   in Loop: Header=BB4_1001 Depth=2
	s_and_saveexec_b32 s23, s11
	s_cbranch_execz .LBB4_1129
; %bb.1117:                             ;   in Loop: Header=BB4_1001 Depth=2
	s_mov_b32 s62, exec_lo
	s_mov_b32 s61, exec_lo
	v_mbcnt_lo_u32_b32 v8, s62, 0
	;;#ASMSTART
	s_waitcnt lgkmcnt(0) vmcnt(0)
	;;#ASMEND
	v_cmpx_eq_u32_e32 0, v8
	s_cbranch_execz .LBB4_1119
; %bb.1118:                             ;   in Loop: Header=BB4_1001 Depth=2
	s_bcnt1_i32_b32 s62, s62
	v_mov_b32_e32 v9, v2
	v_mov_b32_e32 v8, s62
	s_waitcnt vmcnt(0) lgkmcnt(0)
	s_waitcnt_vscnt null, 0x0
	ds_add_u64 v0, v[8:9]
	s_trap 2
.LBB4_1119:                             ;   in Loop: Header=BB4_1001 Depth=2
	s_or_b32 exec_lo, exec_lo, s61
	s_trap 2
	ds_read_b64 v[8:9], v0
	s_waitcnt vmcnt(0) lgkmcnt(0)
	buffer_gl0_inv
	v_add_co_u32 v38, vcc_lo, v38, v101
	v_add_co_ci_u32_e64 v39, null, 0, v39, vcc_lo
	s_mov_b32 s61, exec_lo
	v_cmpx_lt_u64_e64 v[8:9], v[38:39]
	s_cbranch_execz .LBB4_1128
; %bb.1120:                             ;   in Loop: Header=BB4_1001 Depth=2
	s_mov_b32 s62, 0
	s_mov_b32 s73, 0
                                        ; implicit-def: $sgpr63
                                        ; implicit-def: $sgpr72
	s_inst_prefetch 0x1
	s_branch .LBB4_1122
	.p2align	6
.LBB4_1121:                             ;   in Loop: Header=BB4_1122 Depth=3
	s_or_b32 exec_lo, exec_lo, s75
	s_and_b32 s74, exec_lo, s76
	s_or_b32 s62, s74, s62
	s_andn2_b32 s63, s63, exec_lo
	s_and_b32 s74, s72, exec_lo
	s_or_b32 s63, s63, s74
	s_andn2_b32 exec_lo, exec_lo, s62
	s_cbranch_execz .LBB4_1126
.LBB4_1122:                             ;   Parent Loop BB4_47 Depth=1
                                        ;     Parent Loop BB4_1001 Depth=2
                                        ; =>    This Inner Loop Header: Depth=3
	s_add_i32 s73, s73, 1
	s_cmpk_lg_i32 s73, 0x2710
	s_cselect_b32 s74, -1, 0
	s_and_b32 vcc_lo, exec_lo, s74
	s_cbranch_vccz .LBB4_1124
; %bb.1123:                             ;   in Loop: Header=BB4_1122 Depth=3
	s_mov_b32 s76, -1
	s_or_b32 s72, s72, exec_lo
	s_and_saveexec_b32 s75, s74
	s_cbranch_execz .LBB4_1121
	s_branch .LBB4_1125
	.p2align	6
.LBB4_1124:                             ;   in Loop: Header=BB4_1122 Depth=3
	s_trap 2
	ds_read_b64 v[8:9], v0
	s_andn2_b32 s74, s74, exec_lo
	s_mov_b32 s73, 0
	s_waitcnt lgkmcnt(0)
	s_waitcnt_vscnt null, 0x0
	flat_load_dword v8, v[8:9] glc dlc
	s_waitcnt vmcnt(0) lgkmcnt(0)
	buffer_gl1_inv
	buffer_gl0_inv
	v_cmp_eq_u32_e32 vcc_lo, 0, v8
	s_and_b32 s75, vcc_lo, exec_lo
	s_or_b32 s74, s74, s75
	s_mov_b32 s76, -1
	s_or_b32 s72, s72, exec_lo
	s_and_saveexec_b32 s75, s74
	s_cbranch_execz .LBB4_1121
.LBB4_1125:                             ;   in Loop: Header=BB4_1122 Depth=3
	s_sleep 1
	s_trap 2
	ds_read_b64 v[8:9], v0
	s_waitcnt lgkmcnt(0)
	buffer_gl0_inv
	s_andn2_b32 s72, s72, exec_lo
	v_cmp_ge_u64_e32 vcc_lo, v[8:9], v[38:39]
	s_orn2_b32 s76, vcc_lo, exec_lo
	s_branch .LBB4_1121
.LBB4_1126:                             ;   in Loop: Header=BB4_1001 Depth=2
	s_inst_prefetch 0x2
	s_or_b32 exec_lo, exec_lo, s62
	s_and_saveexec_b32 s62, s63
	s_xor_b32 s62, exec_lo, s62
	s_cbranch_execz .LBB4_1128
; %bb.1127:                             ;   in Loop: Header=BB4_1001 Depth=2
	ds_write_b32 v0, v113
	s_trap 2
.LBB4_1128:                             ;   in Loop: Header=BB4_1001 Depth=2
	s_or_b32 exec_lo, exec_lo, s61
	;;#ASMSTART
	s_wakeup
	;;#ASMEND
.LBB4_1129:                             ;   in Loop: Header=BB4_1001 Depth=2
	s_or_b32 exec_lo, exec_lo, s23
.LBB4_1130:                             ;   in Loop: Header=BB4_1001 Depth=2
	s_andn2_saveexec_b32 s17, s17
	s_cbranch_execz .LBB4_1132
; %bb.1131:                             ;   in Loop: Header=BB4_1001 Depth=2
	;;#ASMSTART
	s_waitcnt lgkmcnt(0) vmcnt(0)
	;;#ASMEND
	s_barrier
.LBB4_1132:                             ;   in Loop: Header=BB4_1001 Depth=2
	s_or_b32 exec_lo, exec_lo, s17
.LBB4_1133:                             ;   in Loop: Header=BB4_1001 Depth=2
	s_or_b32 exec_lo, exec_lo, s16
	v_and_b32_e32 v8, 32, v98
	s_mov_b32 s16, exec_lo
	v_cmpx_ne_u32_e32 0, v8
	s_cbranch_execz .LBB4_1000
; %bb.1134:                             ;   in Loop: Header=BB4_1001 Depth=2
	v_add_co_u32 v64, vcc_lo, v64, 2
	v_add_co_ci_u32_e64 v65, null, 0, v65, vcc_lo
	s_waitcnt vmcnt(0) lgkmcnt(0)
	s_waitcnt_vscnt null, 0x0
	flat_store_dwordx2 v[32:33], v[64:65]
	s_branch .LBB4_1000
.LBB4_1135:                             ;   in Loop: Header=BB4_47 Depth=1
	s_or_b32 exec_lo, exec_lo, s19
.LBB4_1136:                             ;   in Loop: Header=BB4_47 Depth=1
	s_or_b32 exec_lo, exec_lo, s18
	s_mov_b32 s17, exec_lo
	v_cmpx_gt_i32_e32 2, v10
	s_cbranch_execz .LBB4_46
; %bb.1137:                             ;   in Loop: Header=BB4_47 Depth=1
	v_cmp_eq_u32_e64 s19, 0, v10
	s_mov_b32 s18, 0
	s_branch .LBB4_1139
.LBB4_1138:                             ;   in Loop: Header=BB4_1139 Depth=2
	s_or_b32 exec_lo, exec_lo, s16
	v_add_nc_u32_e32 v17, v16, v17
	s_mov_b32 s19, 0
	s_andn2_b32 exec_lo, exec_lo, s18
	s_cbranch_execz .LBB4_45
.LBB4_1139:                             ;   Parent Loop BB4_47 Depth=1
                                        ; =>  This Loop Header: Depth=2
                                        ;       Child Loop BB4_1145 Depth 3
                                        ;       Child Loop BB4_1169 Depth 3
	;; [unrolled: 1-line block ×3, first 2 shown]
	v_and_b32_e32 v8, 4, v98
	s_mov_b32 s20, exec_lo
	v_cmpx_ne_u32_e32 0, v8
	s_cbranch_execz .LBB4_1161
; %bb.1140:                             ;   in Loop: Header=BB4_1139 Depth=2
	v_add_co_u32 v8, vcc_lo, v64, 2
	v_add_co_ci_u32_e64 v9, null, 0, v65, vcc_lo
	s_mov_b32 s21, exec_lo
	s_waitcnt vmcnt(0) lgkmcnt(1)
	v_cmpx_lt_u64_e64 v[48:49], v[8:9]
	s_cbranch_execz .LBB4_1152
; %bb.1141:                             ;   in Loop: Header=BB4_1139 Depth=2
	v_and_b32_e32 v10, 64, v98
	s_mov_b32 s23, 0
	s_mov_b32 s72, 0
                                        ; implicit-def: $sgpr61
                                        ; implicit-def: $sgpr62
                                        ; implicit-def: $sgpr63
	v_cmp_eq_u32_e32 vcc_lo, 0, v10
	s_branch .LBB4_1145
.LBB4_1142:                             ;   in Loop: Header=BB4_1145 Depth=3
	s_waitcnt vmcnt(0) lgkmcnt(0)
	v_cmp_ge_u64_e64 s16, v[48:49], v[8:9]
	s_or_b32 s75, s75, exec_lo
	s_orn2_b32 s74, s16, exec_lo
.LBB4_1143:                             ;   in Loop: Header=BB4_1145 Depth=3
	s_or_b32 exec_lo, exec_lo, s77
	s_andn2_b32 s16, s63, exec_lo
	s_and_b32 s63, s75, exec_lo
	s_andn2_b32 s62, s62, exec_lo
	s_and_b32 s74, s74, exec_lo
	s_or_b32 s63, s16, s63
	s_or_b32 s62, s62, s74
.LBB4_1144:                             ;   in Loop: Header=BB4_1145 Depth=3
	s_or_b32 exec_lo, exec_lo, s73
	s_and_b32 s16, exec_lo, s62
	s_or_b32 s23, s16, s23
	s_andn2_b32 s16, s61, exec_lo
	s_and_b32 s61, s63, exec_lo
	s_or_b32 s61, s16, s61
	s_andn2_b32 exec_lo, exec_lo, s23
	s_cbranch_execz .LBB4_1149
.LBB4_1145:                             ;   Parent Loop BB4_47 Depth=1
                                        ;     Parent Loop BB4_1139 Depth=2
                                        ; =>    This Inner Loop Header: Depth=3
	s_sleep 1
	s_waitcnt vmcnt(0) lgkmcnt(0)
	flat_load_dwordx2 v[48:49], v[32:33] glc dlc
	s_or_b32 s63, s63, exec_lo
	s_or_b32 s62, s62, exec_lo
                                        ; implicit-def: $vgpr10
	s_and_saveexec_b32 s73, vcc_lo
	s_cbranch_execz .LBB4_1144
; %bb.1146:                             ;   in Loop: Header=BB4_1145 Depth=3
	s_cmpk_lt_i32 s72, 0x270f
	s_mov_b32 s74, -1
	s_cselect_b32 s76, -1, 0
	s_cmpk_gt_i32 s72, 0x270e
	s_cbranch_scc0 .LBB4_1148
; %bb.1147:                             ;   in Loop: Header=BB4_1145 Depth=3
	s_trap 2
	ds_read_b64 v[10:11], v0
	s_andn2_b32 s72, s76, exec_lo
	s_mov_b32 s75, 0
	s_waitcnt vmcnt(0) lgkmcnt(0)
	s_waitcnt_vscnt null, 0x0
	flat_load_dword v10, v[10:11] glc dlc
	s_waitcnt vmcnt(0) lgkmcnt(0)
	buffer_gl1_inv
	buffer_gl0_inv
	v_cmp_eq_u32_e64 s16, 0, v10
	s_and_b32 s16, s16, exec_lo
	s_or_b32 s76, s72, s16
	s_mov_b32 s72, 0
	s_and_saveexec_b32 s77, s76
	s_cbranch_execz .LBB4_1143
	s_branch .LBB4_1142
.LBB4_1148:                             ;   in Loop: Header=BB4_1145 Depth=3
	s_add_i32 s72, s72, 1
	s_mov_b32 s75, -1
                                        ; implicit-def: $vgpr10
	s_and_saveexec_b32 s77, s76
	s_cbranch_execz .LBB4_1143
	s_branch .LBB4_1142
.LBB4_1149:                             ;   in Loop: Header=BB4_1139 Depth=2
	s_or_b32 exec_lo, exec_lo, s23
	s_xor_b32 s16, s61, -1
	s_and_saveexec_b32 s23, s16
	s_xor_b32 s16, exec_lo, s23
	s_cbranch_execz .LBB4_1151
; %bb.1150:                             ;   in Loop: Header=BB4_1139 Depth=2
	v_or_b32_e32 v98, 64, v98
	s_waitcnt vmcnt(0) lgkmcnt(0)
	s_waitcnt_vscnt null, 0x0
	ds_write_b32 v0, v10
	s_trap 2
.LBB4_1151:                             ;   in Loop: Header=BB4_1139 Depth=2
	s_or_b32 exec_lo, exec_lo, s16
.LBB4_1152:                             ;   in Loop: Header=BB4_1139 Depth=2
	s_or_b32 exec_lo, exec_lo, s21
	v_and_b32_e32 v10, 0x100, v98
	v_and_b32_e32 v14, 7, v64
	s_mov_b32 s16, -1
	;;#ASMSTART
	s_wakeup
	;;#ASMEND
	v_cmp_ne_u32_e32 vcc_lo, 0, v10
                                        ; implicit-def: $vgpr10_vgpr11
	s_and_saveexec_b32 s21, vcc_lo
	s_cbranch_execz .LBB4_1156
; %bb.1153:                             ;   in Loop: Header=BB4_1139 Depth=2
	v_mad_u64_u32 v[12:13], null, v14, 24, v[6:7]
	flat_load_dword v10, v[12:13]
	s_waitcnt vmcnt(0) lgkmcnt(0)
	v_cmp_eq_u32_e64 s16, 1, v10
	v_cmp_ne_u32_e32 vcc_lo, 1, v10
                                        ; implicit-def: $vgpr10_vgpr11
	s_and_saveexec_b32 s23, s16
	s_cbranch_execz .LBB4_1155
; %bb.1154:                             ;   in Loop: Header=BB4_1139 Depth=2
	flat_load_dword v10, v[12:13] offset:4 glc dlc
	s_waitcnt vmcnt(0) lgkmcnt(0)
	v_ashrrev_i32_e32 v11, 31, v10
.LBB4_1155:                             ;   in Loop: Header=BB4_1139 Depth=2
	s_or_b32 exec_lo, exec_lo, s23
	s_orn2_b32 s16, vcc_lo, exec_lo
.LBB4_1156:                             ;   in Loop: Header=BB4_1139 Depth=2
	s_or_b32 exec_lo, exec_lo, s21
	s_and_saveexec_b32 s21, s16
; %bb.1157:                             ;   in Loop: Header=BB4_1139 Depth=2
	v_mad_i64_i32 v[10:11], null, v14, v99, 0
; %bb.1158:                             ;   in Loop: Header=BB4_1139 Depth=2
	s_or_b32 exec_lo, exec_lo, s21
	v_add_co_u32 v10, vcc_lo, v34, v10
	v_and_b32_e32 v12, 0x2000, v98
	v_add_co_ci_u32_e64 v11, null, v35, v11, vcc_lo
	s_mov_b32 s16, exec_lo
	ds_write_b64 v0, v[10:11] offset:720
	v_cmpx_ne_u32_e32 0, v12
	s_cbranch_execz .LBB4_1160
; %bb.1159:                             ;   in Loop: Header=BB4_1139 Depth=2
	ds_read_b64 v[10:11], v0 offset:872
	s_waitcnt lgkmcnt(0)
	v_add_co_u32 v10, vcc_lo, v10, 1
	v_add_co_ci_u32_e64 v11, null, 0, v11, vcc_lo
	ds_write_b64 v0, v[10:11] offset:872
.LBB4_1160:                             ;   in Loop: Header=BB4_1139 Depth=2
	s_or_b32 exec_lo, exec_lo, s16
	v_mov_b32_e32 v65, v9
	v_mov_b32_e32 v64, v8
.LBB4_1161:                             ;   in Loop: Header=BB4_1139 Depth=2
	s_or_b32 exec_lo, exec_lo, s20
	s_xor_b32 s16, s19, -1
	s_and_b32 s16, exec_lo, s16
	s_or_b32 s18, s16, s18
	s_and_saveexec_b32 s16, s6
	s_cbranch_execz .LBB4_1180
; %bb.1162:                             ;   in Loop: Header=BB4_1139 Depth=2
	s_and_saveexec_b32 s19, s29
	s_xor_b32 s19, exec_lo, s19
	s_cbranch_execz .LBB4_1177
; %bb.1163:                             ;   in Loop: Header=BB4_1139 Depth=2
	s_and_saveexec_b32 s20, s11
	s_cbranch_execz .LBB4_1176
; %bb.1164:                             ;   in Loop: Header=BB4_1139 Depth=2
	s_mov_b32 s23, exec_lo
	s_mov_b32 s21, exec_lo
	v_mbcnt_lo_u32_b32 v8, s23, 0
	s_waitcnt vmcnt(0) lgkmcnt(0)
	s_waitcnt_vscnt null, 0x0
	buffer_gl1_inv
	buffer_gl0_inv
	v_cmpx_eq_u32_e32 0, v8
	s_cbranch_execz .LBB4_1166
; %bb.1165:                             ;   in Loop: Header=BB4_1139 Depth=2
	s_bcnt1_i32_b32 s23, s23
	v_mov_b32_e32 v9, v2
	v_mov_b32_e32 v8, s23
	ds_add_u64 v0, v[8:9]
	s_trap 2
.LBB4_1166:                             ;   in Loop: Header=BB4_1139 Depth=2
	s_or_b32 exec_lo, exec_lo, s21
	s_trap 2
	ds_read_b64 v[8:9], v0
	s_waitcnt lgkmcnt(0)
	buffer_gl0_inv
	v_add_co_u32 v38, vcc_lo, v38, v101
	v_add_co_ci_u32_e64 v39, null, 0, v39, vcc_lo
	s_mov_b32 s21, exec_lo
	v_cmpx_lt_u64_e64 v[8:9], v[38:39]
	s_cbranch_execz .LBB4_1175
; %bb.1167:                             ;   in Loop: Header=BB4_1139 Depth=2
	s_mov_b32 s23, 0
	s_mov_b32 s63, 0
                                        ; implicit-def: $sgpr61
                                        ; implicit-def: $sgpr62
	s_inst_prefetch 0x1
	s_branch .LBB4_1169
	.p2align	6
.LBB4_1168:                             ;   in Loop: Header=BB4_1169 Depth=3
	s_or_b32 exec_lo, exec_lo, s73
	s_and_b32 s72, exec_lo, s74
	s_or_b32 s23, s72, s23
	s_andn2_b32 s61, s61, exec_lo
	s_and_b32 s72, s62, exec_lo
	s_or_b32 s61, s61, s72
	s_andn2_b32 exec_lo, exec_lo, s23
	s_cbranch_execz .LBB4_1173
.LBB4_1169:                             ;   Parent Loop BB4_47 Depth=1
                                        ;     Parent Loop BB4_1139 Depth=2
                                        ; =>    This Inner Loop Header: Depth=3
	s_add_i32 s63, s63, 1
	s_cmpk_lg_i32 s63, 0x2710
	s_cselect_b32 s72, -1, 0
	s_and_b32 vcc_lo, exec_lo, s72
	s_cbranch_vccz .LBB4_1171
; %bb.1170:                             ;   in Loop: Header=BB4_1169 Depth=3
	s_mov_b32 s74, -1
	s_or_b32 s62, s62, exec_lo
	s_and_saveexec_b32 s73, s72
	s_cbranch_execz .LBB4_1168
	s_branch .LBB4_1172
	.p2align	6
.LBB4_1171:                             ;   in Loop: Header=BB4_1169 Depth=3
	s_trap 2
	ds_read_b64 v[8:9], v0
	s_andn2_b32 s72, s72, exec_lo
	s_mov_b32 s63, 0
	s_waitcnt lgkmcnt(0)
	flat_load_dword v8, v[8:9] glc dlc
	s_waitcnt vmcnt(0) lgkmcnt(0)
	buffer_gl1_inv
	buffer_gl0_inv
	v_cmp_eq_u32_e32 vcc_lo, 0, v8
	s_and_b32 s73, vcc_lo, exec_lo
	s_or_b32 s72, s72, s73
	s_mov_b32 s74, -1
	s_or_b32 s62, s62, exec_lo
	s_and_saveexec_b32 s73, s72
	s_cbranch_execz .LBB4_1168
.LBB4_1172:                             ;   in Loop: Header=BB4_1169 Depth=3
	s_sleep 1
	s_trap 2
	ds_read_b64 v[8:9], v0
	s_waitcnt lgkmcnt(0)
	buffer_gl0_inv
	s_andn2_b32 s62, s62, exec_lo
	v_cmp_ge_u64_e32 vcc_lo, v[8:9], v[38:39]
	s_orn2_b32 s74, vcc_lo, exec_lo
	s_branch .LBB4_1168
.LBB4_1173:                             ;   in Loop: Header=BB4_1139 Depth=2
	s_inst_prefetch 0x2
	s_or_b32 exec_lo, exec_lo, s23
	s_and_saveexec_b32 s23, s61
	s_xor_b32 s23, exec_lo, s23
	s_cbranch_execz .LBB4_1175
; %bb.1174:                             ;   in Loop: Header=BB4_1139 Depth=2
	ds_write_b32 v0, v113
	s_trap 2
.LBB4_1175:                             ;   in Loop: Header=BB4_1139 Depth=2
	s_or_b32 exec_lo, exec_lo, s21
	;;#ASMSTART
	s_wakeup
	;;#ASMEND
.LBB4_1176:                             ;   in Loop: Header=BB4_1139 Depth=2
	s_or_b32 exec_lo, exec_lo, s20
.LBB4_1177:                             ;   in Loop: Header=BB4_1139 Depth=2
	s_andn2_saveexec_b32 s19, s19
	s_cbranch_execz .LBB4_1179
; %bb.1178:                             ;   in Loop: Header=BB4_1139 Depth=2
	s_waitcnt vmcnt(0) lgkmcnt(0)
	s_waitcnt_vscnt null, 0x0
	buffer_gl1_inv
	buffer_gl0_inv
	s_barrier
.LBB4_1179:                             ;   in Loop: Header=BB4_1139 Depth=2
	s_or_b32 exec_lo, exec_lo, s19
.LBB4_1180:                             ;   in Loop: Header=BB4_1139 Depth=2
	s_or_b32 exec_lo, exec_lo, s16
	v_sub_nc_u32_e32 v8, v3, v17
	v_min_i32_e32 v16, v16, v8
	s_and_saveexec_b32 s16, s15
	s_xor_b32 s19, exec_lo, s16
	s_cbranch_execz .LBB4_1184
; %bb.1181:                             ;   in Loop: Header=BB4_1139 Depth=2
	s_trap 2
	ds_read_b32 v8, v0
	v_cmp_lt_i32_e32 vcc_lo, 0, v16
	s_waitcnt lgkmcnt(0)
	v_readfirstlane_b32 s16, v8
	v_and_b32_e32 v8, 16, v98
	s_cmp_eq_u32 s16, 0
	v_cmp_ne_u32_e64 s16, 0, v8
	s_cselect_b32 s20, -1, 0
	s_and_b32 s20, vcc_lo, s20
	s_and_b32 s20, s16, s20
	s_and_saveexec_b32 s16, s20
	s_cbranch_execz .LBB4_1183
; %bb.1182:                             ;   in Loop: Header=BB4_1139 Depth=2
	s_waitcnt vmcnt(0)
	s_waitcnt_vscnt null, 0x0
	buffer_gl1_inv
	buffer_gl0_inv
.LBB4_1183:                             ;   in Loop: Header=BB4_1139 Depth=2
	s_or_b32 exec_lo, exec_lo, s16
.LBB4_1184:                             ;   in Loop: Header=BB4_1139 Depth=2
	s_andn2_saveexec_b32 s16, s19
	s_cbranch_execz .LBB4_1203
; %bb.1185:                             ;   in Loop: Header=BB4_1139 Depth=2
	s_and_saveexec_b32 s19, s29
	s_xor_b32 s19, exec_lo, s19
	s_cbranch_execz .LBB4_1200
; %bb.1186:                             ;   in Loop: Header=BB4_1139 Depth=2
	s_and_saveexec_b32 s20, s11
	s_cbranch_execz .LBB4_1199
; %bb.1187:                             ;   in Loop: Header=BB4_1139 Depth=2
	s_mov_b32 s23, exec_lo
	s_mov_b32 s21, exec_lo
	v_mbcnt_lo_u32_b32 v8, s23, 0
	;;#ASMSTART
	s_waitcnt lgkmcnt(0) vmcnt(0)
	;;#ASMEND
	v_cmpx_eq_u32_e32 0, v8
	s_cbranch_execz .LBB4_1189
; %bb.1188:                             ;   in Loop: Header=BB4_1139 Depth=2
	s_bcnt1_i32_b32 s23, s23
	v_mov_b32_e32 v9, v2
	v_mov_b32_e32 v8, s23
	s_waitcnt vmcnt(0) lgkmcnt(0)
	s_waitcnt_vscnt null, 0x0
	ds_add_u64 v0, v[8:9]
	s_trap 2
.LBB4_1189:                             ;   in Loop: Header=BB4_1139 Depth=2
	s_or_b32 exec_lo, exec_lo, s21
	s_trap 2
	ds_read_b64 v[8:9], v0
	s_waitcnt vmcnt(0) lgkmcnt(0)
	buffer_gl0_inv
	v_add_co_u32 v38, vcc_lo, v38, v101
	v_add_co_ci_u32_e64 v39, null, 0, v39, vcc_lo
	s_mov_b32 s21, exec_lo
	v_cmpx_lt_u64_e64 v[8:9], v[38:39]
	s_cbranch_execz .LBB4_1198
; %bb.1190:                             ;   in Loop: Header=BB4_1139 Depth=2
	s_mov_b32 s23, 0
	s_mov_b32 s63, 0
                                        ; implicit-def: $sgpr61
                                        ; implicit-def: $sgpr62
	s_inst_prefetch 0x1
	s_branch .LBB4_1192
	.p2align	6
.LBB4_1191:                             ;   in Loop: Header=BB4_1192 Depth=3
	s_or_b32 exec_lo, exec_lo, s73
	s_and_b32 s72, exec_lo, s74
	s_or_b32 s23, s72, s23
	s_andn2_b32 s61, s61, exec_lo
	s_and_b32 s72, s62, exec_lo
	s_or_b32 s61, s61, s72
	s_andn2_b32 exec_lo, exec_lo, s23
	s_cbranch_execz .LBB4_1196
.LBB4_1192:                             ;   Parent Loop BB4_47 Depth=1
                                        ;     Parent Loop BB4_1139 Depth=2
                                        ; =>    This Inner Loop Header: Depth=3
	s_add_i32 s63, s63, 1
	s_cmpk_lg_i32 s63, 0x2710
	s_cselect_b32 s72, -1, 0
	s_and_b32 vcc_lo, exec_lo, s72
	s_cbranch_vccz .LBB4_1194
; %bb.1193:                             ;   in Loop: Header=BB4_1192 Depth=3
	s_mov_b32 s74, -1
	s_or_b32 s62, s62, exec_lo
	s_and_saveexec_b32 s73, s72
	s_cbranch_execz .LBB4_1191
	s_branch .LBB4_1195
	.p2align	6
.LBB4_1194:                             ;   in Loop: Header=BB4_1192 Depth=3
	s_trap 2
	ds_read_b64 v[8:9], v0
	s_andn2_b32 s72, s72, exec_lo
	s_mov_b32 s63, 0
	s_waitcnt lgkmcnt(0)
	s_waitcnt_vscnt null, 0x0
	flat_load_dword v8, v[8:9] glc dlc
	s_waitcnt vmcnt(0) lgkmcnt(0)
	buffer_gl1_inv
	buffer_gl0_inv
	v_cmp_eq_u32_e32 vcc_lo, 0, v8
	s_and_b32 s73, vcc_lo, exec_lo
	s_or_b32 s72, s72, s73
	s_mov_b32 s74, -1
	s_or_b32 s62, s62, exec_lo
	s_and_saveexec_b32 s73, s72
	s_cbranch_execz .LBB4_1191
.LBB4_1195:                             ;   in Loop: Header=BB4_1192 Depth=3
	s_sleep 1
	s_trap 2
	ds_read_b64 v[8:9], v0
	s_waitcnt lgkmcnt(0)
	buffer_gl0_inv
	s_andn2_b32 s62, s62, exec_lo
	v_cmp_ge_u64_e32 vcc_lo, v[8:9], v[38:39]
	s_orn2_b32 s74, vcc_lo, exec_lo
	s_branch .LBB4_1191
.LBB4_1196:                             ;   in Loop: Header=BB4_1139 Depth=2
	s_inst_prefetch 0x2
	s_or_b32 exec_lo, exec_lo, s23
	s_and_saveexec_b32 s23, s61
	s_xor_b32 s23, exec_lo, s23
	s_cbranch_execz .LBB4_1198
; %bb.1197:                             ;   in Loop: Header=BB4_1139 Depth=2
	ds_write_b32 v0, v113
	s_trap 2
.LBB4_1198:                             ;   in Loop: Header=BB4_1139 Depth=2
	s_or_b32 exec_lo, exec_lo, s21
	;;#ASMSTART
	s_wakeup
	;;#ASMEND
.LBB4_1199:                             ;   in Loop: Header=BB4_1139 Depth=2
	s_or_b32 exec_lo, exec_lo, s20
.LBB4_1200:                             ;   in Loop: Header=BB4_1139 Depth=2
	s_andn2_saveexec_b32 s19, s19
	s_cbranch_execz .LBB4_1202
; %bb.1201:                             ;   in Loop: Header=BB4_1139 Depth=2
	;;#ASMSTART
	s_waitcnt lgkmcnt(0) vmcnt(0)
	;;#ASMEND
	s_barrier
.LBB4_1202:                             ;   in Loop: Header=BB4_1139 Depth=2
	s_or_b32 exec_lo, exec_lo, s19
.LBB4_1203:                             ;   in Loop: Header=BB4_1139 Depth=2
	s_or_b32 exec_lo, exec_lo, s16
	v_and_b32_e32 v8, 32, v98
	s_mov_b32 s16, exec_lo
	v_cmpx_ne_u32_e32 0, v8
	s_cbranch_execz .LBB4_1138
; %bb.1204:                             ;   in Loop: Header=BB4_1139 Depth=2
	v_add_co_u32 v64, vcc_lo, v64, 2
	v_add_co_ci_u32_e64 v65, null, 0, v65, vcc_lo
	s_waitcnt vmcnt(0) lgkmcnt(0)
	s_waitcnt_vscnt null, 0x0
	flat_store_dwordx2 v[32:33], v[64:65]
	s_branch .LBB4_1138
.LBB4_1205:
	s_or_b32 exec_lo, exec_lo, s27
.LBB4_1206:
	s_or_b32 exec_lo, exec_lo, s26
	v_and_b32_e32 v0, 0x800, v98
	s_mov_b32 s5, exec_lo
	v_cmpx_eq_u32_e32 0, v0
	s_cbranch_execz .LBB4_1239
; %bb.1207:
	v_and_b32_e32 v0, 48, v98
	s_mov_b32 s4, exec_lo
	v_cmpx_ne_u32_e32 0, v0
	s_cbranch_execz .LBB4_1209
; %bb.1208:
	flat_store_dwordx2 v[28:29], v[64:65] offset:104
.LBB4_1209:
	s_or_b32 exec_lo, exec_lo, s4
	v_and_b32_e32 v0, 0x88, v98
	s_mov_b32 s6, exec_lo
	v_cmpx_eq_u32_e32 0x88, v0
	s_cbranch_execz .LBB4_1219
; %bb.1210:
	v_add_nc_u32_e32 v0, 6, v64
	s_mov_b32 s7, 0
	v_and_b32_e32 v0, 7, v0
	v_mad_u64_u32 v[2:3], null, v0, 24, v[6:7]
	v_and_b32_e32 v0, 64, v98
	v_cmp_eq_u32_e64 s4, 0, v0
	flat_load_dwordx2 v[4:5], v[2:3] offset:8 glc dlc
	s_waitcnt vmcnt(0) lgkmcnt(0)
	v_cmp_ne_u64_e32 vcc_lo, -1, v[4:5]
	s_and_b32 s4, vcc_lo, s4
	s_and_b32 exec_lo, exec_lo, s4
	s_cbranch_execz .LBB4_1219
; %bb.1211:
	s_mov_b32 s11, 0
                                        ; implicit-def: $sgpr4
                                        ; implicit-def: $sgpr10
	s_inst_prefetch 0x1
	s_branch .LBB4_1214
	.p2align	6
.LBB4_1212:                             ;   in Loop: Header=BB4_1214 Depth=1
	flat_load_dwordx2 v[4:5], v[2:3] offset:8 glc dlc
	s_waitcnt vmcnt(0)
	s_andn2_b32 s10, s10, exec_lo
	s_waitcnt lgkmcnt(0)
	v_cmp_eq_u64_e32 vcc_lo, -1, v[4:5]
	s_orn2_b32 s13, vcc_lo, exec_lo
.LBB4_1213:                             ;   in Loop: Header=BB4_1214 Depth=1
	s_or_b32 exec_lo, exec_lo, s14
	s_and_b32 s12, exec_lo, s13
	s_or_b32 s7, s12, s7
	s_andn2_b32 s4, s4, exec_lo
	s_and_b32 s12, s10, exec_lo
	s_or_b32 s4, s4, s12
	s_andn2_b32 exec_lo, exec_lo, s7
	s_cbranch_execz .LBB4_1217
.LBB4_1214:                             ; =>This Inner Loop Header: Depth=1
	s_cmpk_lt_i32 s11, 0x270f
	s_cselect_b32 s12, -1, 0
	s_and_b32 vcc_lo, exec_lo, s12
	s_cbranch_vccnz .LBB4_1216
; %bb.1215:                             ;   in Loop: Header=BB4_1214 Depth=1
	s_trap 2
	ds_read_b64 v[4:5], v0
	s_andn2_b32 s12, s12, exec_lo
	s_mov_b32 s11, 0
	s_waitcnt lgkmcnt(0)
	s_waitcnt_vscnt null, 0x0
	flat_load_dword v0, v[4:5] glc dlc
	s_waitcnt vmcnt(0) lgkmcnt(0)
	buffer_gl1_inv
	buffer_gl0_inv
	v_cmp_eq_u32_e32 vcc_lo, 0, v0
	s_and_b32 s13, vcc_lo, exec_lo
	s_or_b32 s12, s12, s13
	s_mov_b32 s13, -1
	s_or_b32 s10, s10, exec_lo
	s_and_saveexec_b32 s14, s12
	s_cbranch_execz .LBB4_1213
	s_branch .LBB4_1212
	.p2align	6
.LBB4_1216:                             ;   in Loop: Header=BB4_1214 Depth=1
	s_add_i32 s11, s11, 1
                                        ; implicit-def: $vgpr0
	s_mov_b32 s13, -1
	s_or_b32 s10, s10, exec_lo
	s_and_saveexec_b32 s14, s12
	s_cbranch_execz .LBB4_1213
	s_branch .LBB4_1212
.LBB4_1217:
	s_inst_prefetch 0x2
	s_or_b32 exec_lo, exec_lo, s7
	s_and_saveexec_b32 s7, s4
	s_xor_b32 s7, exec_lo, s7
	s_cbranch_execz .LBB4_1219
; %bb.1218:
	s_waitcnt_vscnt null, 0x0
	ds_write_b32 v0, v0
	s_trap 2
.LBB4_1219:
	s_or_b32 exec_lo, exec_lo, s6
	v_and_b32_e32 v0, 0x2000, v98
	s_mov_b32 s4, exec_lo
	v_cmpx_ne_u32_e32 0, v0
	s_cbranch_execz .LBB4_1221
; %bb.1220:
	s_trap 2
	ds_read_b64 v[2:3], v0
	s_waitcnt lgkmcnt(0)
	flat_store_dwordx2 v[26:27], v[2:3] offset:16
.LBB4_1221:
	s_or_b32 exec_lo, exec_lo, s4
	v_cmp_ne_u32_e32 vcc_lo, 32, v1
	s_and_b32 exec_lo, exec_lo, vcc_lo
	s_cbranch_execz .LBB4_1239
; %bb.1222:
	s_waitcnt vmcnt(0)
	v_cmp_ne_u32_sdwa s4, v1, v30 src0_sel:DWORD src1_sel:WORD_0
	s_and_saveexec_b32 s6, s4
	s_xor_b32 s4, exec_lo, s6
	s_cbranch_execz .LBB4_1237
; %bb.1223:
	v_and_b32_e32 v0, 31, v31
	s_mov_b32 s6, exec_lo
	v_cmpx_eq_u32_e32 0, v0
	s_cbranch_execz .LBB4_1236
; %bb.1224:
	s_mov_b32 s10, exec_lo
	s_mov_b32 s7, exec_lo
	v_mbcnt_lo_u32_b32 v0, s10, 0
	s_waitcnt lgkmcnt(0)
	s_waitcnt_vscnt null, 0x0
	buffer_gl1_inv
	buffer_gl0_inv
	v_cmpx_eq_u32_e32 0, v0
	s_cbranch_execz .LBB4_1226
; %bb.1225:
	s_bcnt1_i32_b32 s10, s10
	v_mov_b32_e32 v3, 0
	v_mov_b32_e32 v2, s10
	ds_add_u64 v0, v[2:3]
	s_trap 2
.LBB4_1226:
	s_or_b32 exec_lo, exec_lo, s7
	s_trap 2
	ds_read_b64 v[2:3], v0
	s_waitcnt lgkmcnt(0)
	buffer_gl0_inv
	v_lshrrev_b32_e32 v0, 5, v1
	s_mov_b32 s7, exec_lo
	v_add_co_u32 v0, vcc_lo, v38, v0
	v_add_co_ci_u32_e64 v1, null, 0, v39, vcc_lo
	v_cmpx_lt_u64_e64 v[2:3], v[0:1]
	s_cbranch_execz .LBB4_1235
; %bb.1227:
	s_mov_b32 s10, 0
	s_mov_b32 s13, 0
                                        ; implicit-def: $sgpr11
                                        ; implicit-def: $sgpr12
	s_inst_prefetch 0x1
	s_branch .LBB4_1229
	.p2align	6
.LBB4_1228:                             ;   in Loop: Header=BB4_1229 Depth=1
	s_or_b32 exec_lo, exec_lo, s15
	s_and_b32 s14, exec_lo, s16
	s_or_b32 s10, s14, s10
	s_andn2_b32 s11, s11, exec_lo
	s_and_b32 s14, s12, exec_lo
	s_or_b32 s11, s11, s14
	s_andn2_b32 exec_lo, exec_lo, s10
	s_cbranch_execz .LBB4_1233
.LBB4_1229:                             ; =>This Inner Loop Header: Depth=1
	s_add_i32 s13, s13, 1
	s_cmpk_lg_i32 s13, 0x2710
	s_cselect_b32 s14, -1, 0
	s_and_b32 vcc_lo, exec_lo, s14
	s_cbranch_vccz .LBB4_1231
; %bb.1230:                             ;   in Loop: Header=BB4_1229 Depth=1
	s_mov_b32 s16, -1
	s_or_b32 s12, s12, exec_lo
	s_and_saveexec_b32 s15, s14
	s_cbranch_execz .LBB4_1228
	s_branch .LBB4_1232
.LBB4_1231:                             ;   in Loop: Header=BB4_1229 Depth=1
	s_trap 2
	ds_read_b64 v[2:3], v0
	s_andn2_b32 s14, s14, exec_lo
	s_mov_b32 s13, 0
	s_waitcnt lgkmcnt(0)
	flat_load_dword v2, v[2:3] glc dlc
	s_waitcnt vmcnt(0) lgkmcnt(0)
	buffer_gl1_inv
	buffer_gl0_inv
	v_cmp_eq_u32_e32 vcc_lo, 0, v2
	s_and_b32 s15, vcc_lo, exec_lo
	s_or_b32 s14, s14, s15
	s_mov_b32 s16, -1
	s_or_b32 s12, s12, exec_lo
	s_and_saveexec_b32 s15, s14
	s_cbranch_execz .LBB4_1228
.LBB4_1232:                             ;   in Loop: Header=BB4_1229 Depth=1
	s_sleep 1
	s_trap 2
	ds_read_b64 v[2:3], v0
	s_waitcnt lgkmcnt(0)
	buffer_gl0_inv
	s_andn2_b32 s12, s12, exec_lo
	v_cmp_ge_u64_e32 vcc_lo, v[2:3], v[0:1]
	s_orn2_b32 s16, vcc_lo, exec_lo
	s_branch .LBB4_1228
.LBB4_1233:
	s_inst_prefetch 0x2
	s_or_b32 exec_lo, exec_lo, s10
	s_and_saveexec_b32 s10, s11
	s_xor_b32 s10, exec_lo, s10
	s_cbranch_execz .LBB4_1235
; %bb.1234:
	v_mov_b32_e32 v0, 1
	ds_write_b32 v0, v0
	s_trap 2
.LBB4_1235:
	s_or_b32 exec_lo, exec_lo, s7
	;;#ASMSTART
	s_wakeup
	;;#ASMEND
.LBB4_1236:
	s_or_b32 exec_lo, exec_lo, s6
.LBB4_1237:
	s_andn2_saveexec_b32 s4, s4
	s_cbranch_execz .LBB4_1239
; %bb.1238:
	s_waitcnt lgkmcnt(0)
	s_waitcnt_vscnt null, 0x0
	buffer_gl1_inv
	buffer_gl0_inv
	s_barrier
.LBB4_1239:
	s_or_b32 exec_lo, exec_lo, s5
.LBB4_1240:
	s_andn2_saveexec_b32 s25, s24
	s_cbranch_execz .LBB4_1242
; %bb.1241:
	s_getpc_b64 s[4:5]
	s_add_u32 s4, s4, __PRETTY_FUNCTION__._ZN10PrimitivesIh10FuncMinMaxIhE12FanSymmetricILi1EELi0E11ProtoSimpleILi2ELi2ELi0ELi2ELi0ELi0EELi0ELb0ELi0ELi0ELi0EEC2EiiPKiS8_PKvPvmhhhP15ncclDevWorkCollP14ncclDevWorkP2pii@rel32@lo+4
	s_addc_u32 s5, s5, __PRETTY_FUNCTION__._ZN10PrimitivesIh10FuncMinMaxIhE12FanSymmetricILi1EELi0E11ProtoSimpleILi2ELi2ELi0ELi2ELi0ELi0EELi0ELb0ELi0ELi0ELi0EEC2EiiPKiS8_PKvPvmhhhP15ncclDevWorkCollP14ncclDevWorkP2pii@rel32@hi+12
	v_mov_b32_e32 v0, s4
	v_mov_b32_e32 v1, s5
	s_getpc_b64 s[6:7]
	s_add_u32 s6, s6, __assert_fail@rel32@lo+4
	s_addc_u32 s7, s7, __assert_fail@rel32@hi+12
	s_swappc_b64 s[30:31], s[6:7]
	; divergent unreachable
.LBB4_1242:
	s_or_b32 exec_lo, exec_lo, s25
	s_clause 0x2d
	buffer_load_dword v125, off, s[0:3], s33
	buffer_load_dword v124, off, s[0:3], s33 offset:4
	buffer_load_dword v123, off, s[0:3], s33 offset:8
	;; [unrolled: 1-line block ×45, first 2 shown]
	v_readlane_b32 s30, v126, 0
	v_readlane_b32 s31, v126, 1
	s_mov_b32 s32, s33
	s_or_saveexec_b32 s4, -1
	buffer_load_dword v126, off, s[0:3], s33 offset:184 ; 4-byte Folded Reload
	s_mov_b32 exec_lo, s4
	s_mov_b32 s33, s88
	s_waitcnt vmcnt(0) lgkmcnt(0)
	s_setpc_b64 s[30:31]
.Lfunc_end4:
	.size	_ZN12_GLOBAL__N_17runRingIh10FuncMinMaxIhE11ProtoSimpleILi2ELi2ELi0ELi2ELi0ELi0EELi0ELi0ELi2ELi0EEEviiP15ncclDevWorkColl, .Lfunc_end4-_ZN12_GLOBAL__N_17runRingIh10FuncMinMaxIhE11ProtoSimpleILi2ELi2ELi0ELi2ELi0ELi0EELi0ELi0ELi2ELi0EEEviiP15ncclDevWorkColl
                                        ; -- End function
	.set .L_ZN12_GLOBAL__N_17runRingIh10FuncMinMaxIhE11ProtoSimpleILi2ELi2ELi0ELi2ELi0ELi0EELi0ELi0ELi2ELi0EEEviiP15ncclDevWorkColl.num_vgpr, max(127, .L__assert_fail.num_vgpr)
	.set .L_ZN12_GLOBAL__N_17runRingIh10FuncMinMaxIhE11ProtoSimpleILi2ELi2ELi0ELi2ELi0ELi0EELi0ELi0ELi2ELi0EEEviiP15ncclDevWorkColl.num_agpr, max(0, .L__assert_fail.num_agpr)
	.set .L_ZN12_GLOBAL__N_17runRingIh10FuncMinMaxIhE11ProtoSimpleILi2ELi2ELi0ELi2ELi0ELi0EELi0ELi0ELi2ELi0EEEviiP15ncclDevWorkColl.numbered_sgpr, max(89, .L__assert_fail.numbered_sgpr)
	.set .L_ZN12_GLOBAL__N_17runRingIh10FuncMinMaxIhE11ProtoSimpleILi2ELi2ELi0ELi2ELi0ELi0EELi0ELi0ELi2ELi0EEEviiP15ncclDevWorkColl.num_named_barrier, max(0, .L__assert_fail.num_named_barrier)
	.set .L_ZN12_GLOBAL__N_17runRingIh10FuncMinMaxIhE11ProtoSimpleILi2ELi2ELi0ELi2ELi0ELi0EELi0ELi0ELi2ELi0EEEviiP15ncclDevWorkColl.private_seg_size, 192+max(.L__assert_fail.private_seg_size)
	.set .L_ZN12_GLOBAL__N_17runRingIh10FuncMinMaxIhE11ProtoSimpleILi2ELi2ELi0ELi2ELi0ELi0EELi0ELi0ELi2ELi0EEEviiP15ncclDevWorkColl.uses_vcc, or(1, .L__assert_fail.uses_vcc)
	.set .L_ZN12_GLOBAL__N_17runRingIh10FuncMinMaxIhE11ProtoSimpleILi2ELi2ELi0ELi2ELi0ELi0EELi0ELi0ELi2ELi0EEEviiP15ncclDevWorkColl.uses_flat_scratch, or(1, .L__assert_fail.uses_flat_scratch)
	.set .L_ZN12_GLOBAL__N_17runRingIh10FuncMinMaxIhE11ProtoSimpleILi2ELi2ELi0ELi2ELi0ELi0EELi0ELi0ELi2ELi0EEEviiP15ncclDevWorkColl.has_dyn_sized_stack, or(0, .L__assert_fail.has_dyn_sized_stack)
	.set .L_ZN12_GLOBAL__N_17runRingIh10FuncMinMaxIhE11ProtoSimpleILi2ELi2ELi0ELi2ELi0ELi0EELi0ELi0ELi2ELi0EEEviiP15ncclDevWorkColl.has_recursion, or(1, .L__assert_fail.has_recursion)
	.set .L_ZN12_GLOBAL__N_17runRingIh10FuncMinMaxIhE11ProtoSimpleILi2ELi2ELi0ELi2ELi0ELi0EELi0ELi0ELi2ELi0EEEviiP15ncclDevWorkColl.has_indirect_call, or(0, .L__assert_fail.has_indirect_call)
	.section	.AMDGPU.csdata,"",@progbits
; Function info:
; codeLenInByte = 51472
; TotalNumSgprs: 91
; NumVgprs: 127
; ScratchSize: 256
; MemoryBound: 1
	.text
	.p2align	2                               ; -- Begin function _Z49ncclDevFunc_AllReduce_RING_SIMPLE_MinMax_u8_0_0_2v
	.type	_Z49ncclDevFunc_AllReduce_RING_SIMPLE_MinMax_u8_0_0_2v,@function
_Z49ncclDevFunc_AllReduce_RING_SIMPLE_MinMax_u8_0_0_2v: ; @_Z49ncclDevFunc_AllReduce_RING_SIMPLE_MinMax_u8_0_0_2v
; %bb.0:
	s_waitcnt vmcnt(0) expcnt(0) lgkmcnt(0)
	s_mov_b32 s94, s33
	s_mov_b32 s33, s32
	s_or_saveexec_b32 s4, -1
	buffer_store_dword v43, off, s[0:3], s33 offset:16 ; 4-byte Folded Spill
	s_mov_b32 exec_lo, s4
	s_addk_i32 s32, 0x400
	buffer_store_dword v40, off, s[0:3], s33 offset:12 ; 4-byte Folded Spill
	buffer_store_dword v41, off, s[0:3], s33 offset:8 ; 4-byte Folded Spill
	;; [unrolled: 1-line block ×3, first 2 shown]
	buffer_store_dword v126, off, s[0:3], s33 ; 4-byte Folded Spill
	v_writelane_b32 v43, s30, 0
	v_writelane_b32 v43, s31, 1
	s_trap 2
	ds_read_b32 v0, v0
	v_mov_b32_e32 v40, v31
	s_mov_b32 s89, s12
	s_mov_b64 s[90:91], s[8:9]
	s_mov_b32 s4, exec_lo
	v_and_b32_e32 v41, 0x3ff, v40
	s_waitcnt lgkmcnt(0)
	v_cmpx_lt_i32_e64 v41, v0
	s_cbranch_execz .LBB5_5
; %bb.1:
	s_load_dword s5, s[90:91], 0x0
	v_mov_b32_e32 v1, 0
	v_mov_b32_e32 v3, v41
                                        ; implicit-def: $vgpr4
	s_waitcnt lgkmcnt(0)
	s_cmp_lt_u32 s89, s5
	s_cselect_b32 s5, 12, 18
	s_add_u32 s6, s90, s5
	s_addc_u32 s7, s91, 0
	s_mov_b32 s5, 0
	global_load_ushort v1, v1, s[6:7]
	s_trap 2
	ds_read_b32 v2, v0
	s_mov_b32 s6, 0
	s_waitcnt vmcnt(0) lgkmcnt(0)
	v_mul_lo_u32 v2, v2, v1
	s_branch .LBB5_3
	.p2align	6
.LBB5_2:                                ;   in Loop: Header=BB5_3 Depth=1
	s_or_b32 exec_lo, exec_lo, s7
	v_add_nc_u32_e32 v3, v3, v1
	v_add_nc_u32_e32 v4, v4, v2
	v_cmp_ge_i32_e32 vcc_lo, v3, v0
	s_or_b32 s6, vcc_lo, s6
	s_andn2_b32 exec_lo, exec_lo, s6
	s_cbranch_execz .LBB5_5
.LBB5_3:                                ; =>This Inner Loop Header: Depth=1
	ds_read_b32 v5, v4
	s_mov_b32 s7, exec_lo
	s_waitcnt lgkmcnt(0)
	v_and_b32_e32 v5, 0x1000000, v5
	v_cmpx_ne_u32_e32 0, v5
	s_cbranch_execz .LBB5_2
; %bb.4:                                ;   in Loop: Header=BB5_3 Depth=1
	ds_read_b64 v[5:6], v4 offset:104
	s_waitcnt lgkmcnt(0)
	flat_load_ubyte v5, v[5:6]
	v_mov_b32_e32 v6, s5
	s_waitcnt vmcnt(0) lgkmcnt(0)
	v_and_b32_e32 v5, 0xffff, v5
	ds_write_b64 v4, v[5:6] offset:104
	s_branch .LBB5_2
.LBB5_5:
	s_or_b32 exec_lo, exec_lo, s4
	s_waitcnt lgkmcnt(0)
	s_waitcnt_vscnt null, 0x0
	s_barrier
	buffer_gl0_inv
	s_trap 2
	ds_read_b32 v0, v0
	s_waitcnt lgkmcnt(0)
	v_cmp_gt_i32_e32 vcc_lo, 1, v0
	s_cbranch_vccnz .LBB5_13
; %bb.6:
	v_mov_b32_e32 v42, 5
	s_mov_b32 s92, 0
	s_inst_prefetch 0x1
	s_branch .LBB5_8
	.p2align	6
.LBB5_7:                                ;   in Loop: Header=BB5_8 Depth=1
	s_or_b32 exec_lo, exec_lo, s93
	s_trap 2
	ds_read_b32 v0, v0
	s_add_i32 s92, s92, 1
	s_waitcnt lgkmcnt(0)
	v_cmp_lt_i32_e32 vcc_lo, s92, v0
	s_cbranch_vccz .LBB5_13
.LBB5_8:                                ; =>This Inner Loop Header: Depth=1
	s_trap 2
	ds_read_b32 v0, v0
	s_cmp_eq_u32 s92, 0
	s_cbranch_scc1 .LBB5_11
; %bb.9:                                ;   in Loop: Header=BB5_8 Depth=1
	s_trap 2
	s_waitcnt lgkmcnt(0)
	ds_read_b32 v1, v0
	s_waitcnt lgkmcnt(0)
	v_xor_b32_e32 v1, v1, v0
	v_and_b32_e32 v1, 0xff0000, v1
	v_cmp_eq_u32_e32 vcc_lo, 0, v1
	s_cbranch_vccnz .LBB5_11
; %bb.10:                               ;   in Loop: Header=BB5_8 Depth=1
	s_barrier
	buffer_gl0_inv
	ds_read_b32 v0, v0
.LBB5_11:                               ;   in Loop: Header=BB5_8 Depth=1
	s_waitcnt lgkmcnt(0)
	v_lshlrev_b32_sdwa v1, v42, v0 dst_sel:DWORD dst_unused:UNUSED_PAD src0_sel:DWORD src1_sel:BYTE_2
	s_mov_b32 s93, exec_lo
	v_cmpx_lt_u32_e64 v41, v1
	s_cbranch_execz .LBB5_7
; %bb.12:                               ;   in Loop: Header=BB5_8 Depth=1
	s_mov_b64 s[4:5], src_shared_base
	v_mov_b32_e32 v31, v40
	v_mov_b32_e32 v0, v41
	;; [unrolled: 1-line block ×3, first 2 shown]
	s_getpc_b64 s[6:7]
	s_add_u32 s6, s6, _ZN12_GLOBAL__N_17runRingIh10FuncMinMaxIhE11ProtoSimpleILi2ELi2ELi0ELi2ELi0ELi0EELi0ELi0ELi2ELi0EEEviiP15ncclDevWorkColl@rel32@lo+4
	s_addc_u32 s7, s7, _ZN12_GLOBAL__N_17runRingIh10FuncMinMaxIhE11ProtoSimpleILi2ELi2ELi0ELi2ELi0ELi0EELi0ELi0ELi2ELi0EEEviiP15ncclDevWorkColl@rel32@hi+12
	s_mov_b64 s[8:9], s[90:91]
	s_mov_b32 s12, s89
	s_swappc_b64 s[30:31], s[6:7]
	s_branch .LBB5_7
.LBB5_13:
	s_inst_prefetch 0x2
	s_clause 0x3
	buffer_load_dword v126, off, s[0:3], s33
	buffer_load_dword v42, off, s[0:3], s33 offset:4
	buffer_load_dword v41, off, s[0:3], s33 offset:8
	;; [unrolled: 1-line block ×3, first 2 shown]
	v_readlane_b32 s30, v43, 0
	v_readlane_b32 s31, v43, 1
	s_mov_b32 s32, s33
	s_or_saveexec_b32 s4, -1
	buffer_load_dword v43, off, s[0:3], s33 offset:16 ; 4-byte Folded Reload
	s_mov_b32 exec_lo, s4
	s_mov_b32 s33, s94
	s_waitcnt vmcnt(0)
	s_setpc_b64 s[30:31]
.Lfunc_end5:
	.size	_Z49ncclDevFunc_AllReduce_RING_SIMPLE_MinMax_u8_0_0_2v, .Lfunc_end5-_Z49ncclDevFunc_AllReduce_RING_SIMPLE_MinMax_u8_0_0_2v
                                        ; -- End function
	.set .L_Z49ncclDevFunc_AllReduce_RING_SIMPLE_MinMax_u8_0_0_2v.num_vgpr, max(127, .L_ZN12_GLOBAL__N_17runRingIh10FuncMinMaxIhE11ProtoSimpleILi2ELi2ELi0ELi2ELi0ELi0EELi0ELi0ELi2ELi0EEEviiP15ncclDevWorkColl.num_vgpr)
	.set .L_Z49ncclDevFunc_AllReduce_RING_SIMPLE_MinMax_u8_0_0_2v.num_agpr, max(0, .L_ZN12_GLOBAL__N_17runRingIh10FuncMinMaxIhE11ProtoSimpleILi2ELi2ELi0ELi2ELi0ELi0EELi0ELi0ELi2ELi0EEEviiP15ncclDevWorkColl.num_agpr)
	.set .L_Z49ncclDevFunc_AllReduce_RING_SIMPLE_MinMax_u8_0_0_2v.numbered_sgpr, max(95, .L_ZN12_GLOBAL__N_17runRingIh10FuncMinMaxIhE11ProtoSimpleILi2ELi2ELi0ELi2ELi0ELi0EELi0ELi0ELi2ELi0EEEviiP15ncclDevWorkColl.numbered_sgpr)
	.set .L_Z49ncclDevFunc_AllReduce_RING_SIMPLE_MinMax_u8_0_0_2v.num_named_barrier, max(0, .L_ZN12_GLOBAL__N_17runRingIh10FuncMinMaxIhE11ProtoSimpleILi2ELi2ELi0ELi2ELi0ELi0EELi0ELi0ELi2ELi0EEEviiP15ncclDevWorkColl.num_named_barrier)
	.set .L_Z49ncclDevFunc_AllReduce_RING_SIMPLE_MinMax_u8_0_0_2v.private_seg_size, 32+max(.L_ZN12_GLOBAL__N_17runRingIh10FuncMinMaxIhE11ProtoSimpleILi2ELi2ELi0ELi2ELi0ELi0EELi0ELi0ELi2ELi0EEEviiP15ncclDevWorkColl.private_seg_size)
	.set .L_Z49ncclDevFunc_AllReduce_RING_SIMPLE_MinMax_u8_0_0_2v.uses_vcc, or(1, .L_ZN12_GLOBAL__N_17runRingIh10FuncMinMaxIhE11ProtoSimpleILi2ELi2ELi0ELi2ELi0ELi0EELi0ELi0ELi2ELi0EEEviiP15ncclDevWorkColl.uses_vcc)
	.set .L_Z49ncclDevFunc_AllReduce_RING_SIMPLE_MinMax_u8_0_0_2v.uses_flat_scratch, or(0, .L_ZN12_GLOBAL__N_17runRingIh10FuncMinMaxIhE11ProtoSimpleILi2ELi2ELi0ELi2ELi0ELi0EELi0ELi0ELi2ELi0EEEviiP15ncclDevWorkColl.uses_flat_scratch)
	.set .L_Z49ncclDevFunc_AllReduce_RING_SIMPLE_MinMax_u8_0_0_2v.has_dyn_sized_stack, or(0, .L_ZN12_GLOBAL__N_17runRingIh10FuncMinMaxIhE11ProtoSimpleILi2ELi2ELi0ELi2ELi0ELi0EELi0ELi0ELi2ELi0EEEviiP15ncclDevWorkColl.has_dyn_sized_stack)
	.set .L_Z49ncclDevFunc_AllReduce_RING_SIMPLE_MinMax_u8_0_0_2v.has_recursion, or(1, .L_ZN12_GLOBAL__N_17runRingIh10FuncMinMaxIhE11ProtoSimpleILi2ELi2ELi0ELi2ELi0ELi0EELi0ELi0ELi2ELi0EEEviiP15ncclDevWorkColl.has_recursion)
	.set .L_Z49ncclDevFunc_AllReduce_RING_SIMPLE_MinMax_u8_0_0_2v.has_indirect_call, or(0, .L_ZN12_GLOBAL__N_17runRingIh10FuncMinMaxIhE11ProtoSimpleILi2ELi2ELi0ELi2ELi0ELi0EELi0ELi0ELi2ELi0EEEviiP15ncclDevWorkColl.has_indirect_call)
	.section	.AMDGPU.csdata,"",@progbits
; Function info:
; codeLenInByte = 728
; TotalNumSgprs: 97
; NumVgprs: 127
; ScratchSize: 288
; MemoryBound: 0
	.text
	.p2align	2                               ; -- Begin function _ZN12_GLOBAL__N_17runRingIh10FuncMinMaxIhE11ProtoSimpleILi2ELi2ELi0ELi4ELi0ELi0EELi0ELi0ELi4ELi0EEEviiP15ncclDevWorkColl
	.type	_ZN12_GLOBAL__N_17runRingIh10FuncMinMaxIhE11ProtoSimpleILi2ELi2ELi0ELi4ELi0ELi0EELi0ELi0ELi4ELi0EEEviiP15ncclDevWorkColl,@function
_ZN12_GLOBAL__N_17runRingIh10FuncMinMaxIhE11ProtoSimpleILi2ELi2ELi0ELi4ELi0ELi0EELi0ELi0ELi4ELi0EEEviiP15ncclDevWorkColl: ; @_ZN12_GLOBAL__N_17runRingIh10FuncMinMaxIhE11ProtoSimpleILi2ELi2ELi0ELi4ELi0ELi0EELi0ELi0ELi4ELi0EEEviiP15ncclDevWorkColl
; %bb.0:
	s_waitcnt vmcnt(0) expcnt(0) lgkmcnt(0)
	s_mov_b32 s93, s33
	s_mov_b32 s33, s32
	s_or_saveexec_b32 s4, -1
	buffer_store_dword v127, off, s[0:3], s33 offset:288 ; 4-byte Folded Spill
	s_mov_b32 exec_lo, s4
	s_addk_i32 s32, 0x2600
	buffer_store_dword v40, off, s[0:3], s33 offset:184 ; 4-byte Folded Spill
	buffer_store_dword v41, off, s[0:3], s33 offset:180 ; 4-byte Folded Spill
	;; [unrolled: 1-line block ×46, first 2 shown]
	buffer_store_dword v126, off, s[0:3], s33 ; 4-byte Folded Spill
	v_writelane_b32 v127, s30, 0
	v_writelane_b32 v127, s31, 1
	s_trap 2
	flat_load_dword v9, v[2:3]
	ds_read_b32 v6, v0
                                        ; implicit-def: $vgpr14_vgpr15
                                        ; implicit-def: $vgpr4_vgpr5
                                        ; kill: killed $vgpr4_vgpr5
                                        ; implicit-def: $vgpr22_vgpr23
	s_waitcnt lgkmcnt(0)
	v_readfirstlane_b32 s42, v6
	s_waitcnt vmcnt(0)
	v_cmp_ne_u32_sdwa s4, v6, v9 src0_sel:DWORD src1_sel:BYTE_0
	s_and_saveexec_b32 s5, s4
	s_xor_b32 s4, exec_lo, s5
	s_cbranch_execz .LBB6_6
; %bb.1:
	v_not_b32_sdwa v8, v9 dst_sel:DWORD dst_unused:UNUSED_PAD src0_sel:BYTE_0
	v_cmp_ne_u32_sdwa s5, v6, v9 src0_sel:DWORD src1_sel:BYTE_1
                                        ; implicit-def: $vgpr14_vgpr15
                                        ; implicit-def: $vgpr4_vgpr5
                                        ; kill: killed $vgpr4_vgpr5
                                        ; implicit-def: $vgpr22_vgpr23
	s_and_saveexec_b32 s6, s5
	s_xor_b32 s5, exec_lo, s6
	s_cbranch_execz .LBB6_3
; %bb.2:
	s_clause 0x1
	flat_load_dwordx4 v[9:12], v[2:3] offset:72
	flat_load_dwordx2 v[4:5], v[2:3] offset:96
	v_add_nc_u32_e32 v6, v6, v8
	v_ashrrev_i32_e32 v7, 31, v6
	s_waitcnt vmcnt(1) lgkmcnt(1)
	v_mul_lo_u32 v7, v11, v7
	v_mad_u64_u32 v[8:9], null, v11, v6, v[9:10]
	v_mul_lo_u32 v6, v12, v6
	v_mov_b32_e32 v23, v12
	s_waitcnt vmcnt(0) lgkmcnt(0)
	v_lshrrev_b64 v[14:15], 12, v[4:5]
	v_mov_b32_e32 v22, v11
	v_add3_u32 v9, v6, v9, v7
	buffer_store_dword v8, off, s[0:3], s33 offset:228 ; 4-byte Folded Spill
	buffer_store_dword v9, off, s[0:3], s33 offset:232 ; 4-byte Folded Spill
                                        ; implicit-def: $vgpr9
                                        ; implicit-def: $vgpr8
.LBB6_3:
	s_andn2_saveexec_b32 s5, s5
	s_cbranch_execz .LBB6_5
; %bb.4:
	s_clause 0x1
	flat_load_dwordx4 v[10:13], v[2:3] offset:72
	flat_load_dwordx4 v[22:25], v[2:3] offset:88
	v_add_nc_u32_sdwa v6, v9, v8 dst_sel:DWORD dst_unused:UNUSED_PAD src0_sel:BYTE_1 src1_sel:DWORD
	v_ashrrev_i32_e32 v8, 31, v6
	s_waitcnt vmcnt(1) lgkmcnt(1)
	v_mul_lo_u32 v8, v12, v8
	v_mad_u64_u32 v[4:5], null, v12, v6, v[10:11]
	v_mul_lo_u32 v6, v13, v6
	s_waitcnt vmcnt(0) lgkmcnt(0)
	v_lshrrev_b32_e32 v14, 1, v25
	v_add3_u32 v5, v6, v5, v8
	buffer_store_dword v4, off, s[0:3], s33 offset:228 ; 4-byte Folded Spill
	buffer_store_dword v5, off, s[0:3], s33 offset:232 ; 4-byte Folded Spill
.LBB6_5:
	s_or_b32 exec_lo, exec_lo, s5
.LBB6_6:
	s_andn2_saveexec_b32 s4, s4
	s_cbranch_execz .LBB6_8
; %bb.7:
	s_clause 0x1
	flat_load_dwordx2 v[6:7], v[2:3] offset:96
	flat_load_dwordx2 v[22:23], v[2:3] offset:72
	v_mov_b32_e32 v4, 0
	v_mov_b32_e32 v5, 0
	buffer_store_dword v4, off, s[0:3], s33 offset:228 ; 4-byte Folded Spill
	buffer_store_dword v5, off, s[0:3], s33 offset:232 ; 4-byte Folded Spill
	s_waitcnt vmcnt(1) lgkmcnt(1)
	v_lshlrev_b64 v[14:15], 9, v[6:7]
.LBB6_8:
	s_or_b32 exec_lo, exec_lo, s4
	s_trap 2
	ds_read_b64 v[6:7], v0
	s_mov_b32 s5, exec_lo
	s_waitcnt lgkmcnt(0)
	v_cmp_ne_u32_e32 vcc_lo, -1, v6
	v_cndmask_b32_e64 v19, 0, 1, vcc_lo
	v_cmp_ne_u32_e32 vcc_lo, -1, v7
	v_add_co_ci_u32_e64 v8, null, 0, v19, vcc_lo
	v_lshlrev_b32_e32 v6, 1, v8
	v_cmpx_le_u32_e64 v6, v1
	s_xor_b32 s29, exec_lo, s5
	s_cbranch_execz .LBB6_1240
; %bb.9:
	s_clause 0x3
	flat_load_dwordx4 v[10:13], v[2:3] offset:16
	flat_load_dwordx2 v[15:16], v[2:3] offset:104
	flat_load_ushort v7, v[2:3] offset:8
	flat_load_dword v6, v[2:3] offset:4
	s_trap 2
	s_load_dword s4, s[8:9], 0x0
	v_mov_b32_e32 v9, 0
	v_mov_b32_e32 v112, 4
	s_waitcnt lgkmcnt(0)
	s_cmp_lt_u32 s12, s4
	s_cselect_b32 s4, 12, 18
	s_add_u32 s4, s8, s4
	s_addc_u32 s5, s9, 0
	global_load_ushort v21, v9, s[4:5]
	ds_read_b32 v9, v0
	s_mov_b32 s5, exec_lo
	s_waitcnt lgkmcnt(0)
	v_readfirstlane_b32 s15, v9
	v_cmpx_ge_u32_e64 v0, v19
	s_cbranch_execz .LBB6_19
; %bb.10:
	v_cmp_ge_u32_e64 s4, v0, v8
                                        ; implicit-def: $vgpr112
	s_and_saveexec_b32 s6, s4
	s_xor_b32 s4, exec_lo, s6
	s_cbranch_execz .LBB6_16
; %bb.11:
	v_cndmask_b32_e64 v9, 0, 1, vcc_lo
	s_mov_b32 s6, exec_lo
	v_sub_nc_u32_e32 v9, v1, v9
	v_cmpx_ge_u32_e64 v0, v9
	s_xor_b32 s6, exec_lo, s6
; %bb.12:
                                        ; implicit-def: $vgpr8
; %bb.13:
	s_or_saveexec_b32 s6, s6
	v_mov_b32_e32 v112, 16
	s_xor_b32 exec_lo, exec_lo, s6
; %bb.14:
	v_sub_nc_u32_e32 v8, v1, v8
	v_cmp_lt_i32_e32 vcc_lo, v0, v8
	v_cndmask_b32_e64 v112, 32, 0, vcc_lo
; %bb.15:
	s_or_b32 exec_lo, exec_lo, s6
.LBB6_16:
	s_andn2_saveexec_b32 s4, s4
; %bb.17:
	v_mov_b32_e32 v112, 8
; %bb.18:
	s_or_b32 exec_lo, exec_lo, s4
.LBB6_19:
	s_or_b32 exec_lo, exec_lo, s5
	v_and_b32_e32 v8, 36, v112
	v_cmp_ne_u32_e32 vcc_lo, 0, v8
	v_mov_b32_e32 v8, -1
	s_and_saveexec_b32 s4, vcc_lo
	s_cbranch_execz .LBB6_21
; %bb.20:
	s_trap 2
	ds_read_b32 v8, v0
.LBB6_21:
	s_or_b32 exec_lo, exec_lo, s4
	v_and_b32_e32 v9, 24, v112
	s_mov_b32 s5, exec_lo
	v_cmpx_ne_u32_e32 0, v9
	s_cbranch_execz .LBB6_23
; %bb.22:
	s_trap 2
	s_waitcnt lgkmcnt(0)
	ds_read_b32 v8, v0
.LBB6_23:
	s_or_b32 exec_lo, exec_lo, s5
	s_waitcnt vmcnt(1)
	v_lshrrev_b64 v[17:18], 31, v[6:7]
	v_mov_b32_e32 v24, 0
	v_mov_b32_e32 v6, 0
	;; [unrolled: 1-line block ×4, first 2 shown]
                                        ; implicit-def: $vgpr4_vgpr5
                                        ; kill: killed $vgpr4_vgpr5
                                        ; implicit-def: $vgpr113
                                        ; implicit-def: $vgpr68_vgpr69
                                        ; implicit-def: $vgpr38_vgpr39
                                        ; implicit-def: $vgpr52_vgpr53
                                        ; implicit-def: $vgpr36_vgpr37
	v_and_b32_e32 v20, 3, v17
	s_and_saveexec_b32 s4, vcc_lo
	s_cbranch_execz .LBB6_33
; %bb.24:
	s_trap 2
	ds_read_b64 v[6:7], v0
	s_waitcnt lgkmcnt(1)
	v_ashrrev_i32_e32 v9, 31, v8
	s_mov_b32 s5, exec_lo
                                        ; implicit-def: $vgpr4_vgpr5
                                        ; kill: killed $vgpr4_vgpr5
	v_lshlrev_b64 v[17:18], 3, v[8:9]
	v_and_b32_e32 v9, 0xffff, v20
	s_waitcnt lgkmcnt(0)
	v_add_co_u32 v6, vcc_lo, v6, v17
	v_add_co_ci_u32_e64 v7, null, v7, v18, vcc_lo
	flat_load_dwordx2 v[6:7], v[6:7]
	s_waitcnt vmcnt(0) lgkmcnt(0)
	v_mad_u64_u32 v[17:18], null, 0xa8, v9, v[6:7]
	flat_load_dword v6, v[17:18] offset:640
	s_waitcnt vmcnt(0) lgkmcnt(0)
	v_cmpx_eq_u32_e32 1, v6
	s_cbranch_execz .LBB6_26
; %bb.25:
	flat_load_dwordx2 v[4:5], v[17:18] offset:648
	v_or_b32_e32 v112, 0x2000, v112
	s_waitcnt vmcnt(0) lgkmcnt(0)
	flat_load_dwordx2 v[6:7], v[4:5]
	s_trap 2
	s_waitcnt vmcnt(0) lgkmcnt(0)
	ds_write_b64 v0, v[6:7]
	flat_load_dwordx2 v[6:7], v[4:5] offset:8
	s_waitcnt vmcnt(0) lgkmcnt(0)
	ds_write_b64 v0, v[6:7]
	buffer_store_dword v4, off, s[0:3], s33 offset:280 ; 4-byte Folded Spill
	buffer_store_dword v5, off, s[0:3], s33 offset:284 ; 4-byte Folded Spill
	flat_load_dwordx2 v[6:7], v[4:5] offset:16
	s_waitcnt vmcnt(0) lgkmcnt(0)
	ds_write_b64 v0, v[6:7]
.LBB6_26:
	s_or_b32 exec_lo, exec_lo, s5
	flat_load_dwordx2 v[6:7], v[17:18] offset:608
	v_and_b32_e32 v9, 32, v112
	s_mov_b32 s5, exec_lo
                                        ; implicit-def: $vgpr36_vgpr37
	s_waitcnt vmcnt(0) lgkmcnt(0)
	v_add_co_u32 v6, vcc_lo, v6, 3
	v_add_co_ci_u32_e64 v69, null, 0, v7, vcc_lo
	v_and_b32_e32 v68, -4, v6
	v_cmpx_ne_u32_e32 0, v9
	s_cbranch_execz .LBB6_28
; %bb.27:
	flat_load_dwordx2 v[36:37], v[17:18] offset:560
	s_waitcnt vmcnt(0) lgkmcnt(0)
	s_waitcnt_vscnt null, 0x0
	flat_store_dwordx2 v[36:37], v[68:69]
.LBB6_28:
	s_or_b32 exec_lo, exec_lo, s5
	v_add_co_u32 v24, vcc_lo, 0x1f8, v17
	v_mov_b32_e32 v6, 0
	v_and_b32_e32 v9, 4, v112
	v_add_co_ci_u32_e64 v25, null, 0, v18, vcc_lo
	v_mov_b32_e32 v7, 0
	s_mov_b32 s5, exec_lo
                                        ; implicit-def: $vgpr113
                                        ; implicit-def: $vgpr38_vgpr39
                                        ; implicit-def: $vgpr52_vgpr53
	v_cmpx_ne_u32_e32 0, v9
	s_cbranch_execz .LBB6_32
; %bb.29:
	v_and_b32_e32 v6, 0x800, v112
	s_mov_b32 s6, exec_lo
	v_cmpx_eq_u32_e32 0, v6
	s_cbranch_execz .LBB6_31
; %bb.30:
	s_trap 2
	ds_write_b64 v0, v[24:25]
.LBB6_31:
	s_or_b32 exec_lo, exec_lo, s6
	flat_load_dwordx2 v[36:37], v[17:18] offset:552
	v_or_b32_e32 v9, 0x100, v112
	s_waitcnt vmcnt(0) lgkmcnt(0)
	flat_load_dwordx2 v[52:53], v[36:37] glc dlc
	s_clause 0x2
	flat_load_dwordx2 v[6:7], v[17:18] offset:600
	flat_load_dword v113, v[17:18] offset:576
	flat_load_dwordx2 v[38:39], v[17:18] offset:520
	s_waitcnt vmcnt(2) lgkmcnt(2)
	v_cmp_eq_u64_e32 vcc_lo, 0, v[6:7]
	v_cndmask_b32_e32 v112, v9, v112, vcc_lo
.LBB6_32:
	s_or_b32 exec_lo, exec_lo, s5
.LBB6_33:
	s_or_b32 exec_lo, exec_lo, s4
	v_and_b32_e32 v9, 24, v112
	s_mov_b32 s4, exec_lo
                                        ; implicit-def: $vgpr48_vgpr49
	v_cmpx_ne_u32_e32 0, v9
	s_cbranch_execz .LBB6_41
; %bb.34:
	s_trap 2
	ds_read_b64 v[6:7], v0
	s_waitcnt lgkmcnt(1)
	v_ashrrev_i32_e32 v9, 31, v8
	v_or_b32_e32 v17, 0x100, v112
	s_mov_b32 s5, exec_lo
                                        ; implicit-def: $vgpr48_vgpr49
	v_lshlrev_b64 v[8:9], 3, v[8:9]
	s_waitcnt lgkmcnt(0)
	v_add_co_u32 v6, vcc_lo, v6, v8
	v_add_co_ci_u32_e64 v7, null, v7, v9, vcc_lo
	v_and_b32_e32 v8, 0xffff, v20
	flat_load_dwordx2 v[6:7], v[6:7]
	s_waitcnt vmcnt(0) lgkmcnt(0)
	v_mad_u64_u32 v[24:25], null, 0xa8, v8, v[6:7]
	flat_load_dwordx4 v[6:9], v[24:25] offset:96
	s_waitcnt vmcnt(0) lgkmcnt(0)
	v_cmp_eq_u64_e32 vcc_lo, 0, v[6:7]
	v_cndmask_b32_e32 v112, v17, v112, vcc_lo
	v_and_b32_e32 v17, 16, v112
	v_cmpx_ne_u32_e32 0, v17
	s_cbranch_execz .LBB6_36
; %bb.35:
	s_clause 0x2
	flat_load_dwordx2 v[36:37], v[24:25] offset:48
	flat_load_dwordx2 v[48:49], v[24:25] offset:120
	;; [unrolled: 1-line block ×3, first 2 shown]
.LBB6_36:
	s_or_b32 exec_lo, exec_lo, s5
	v_add_co_u32 v8, vcc_lo, v8, 3
	v_and_b32_e32 v17, 8, v112
	v_add_co_ci_u32_e64 v69, null, 0, v9, vcc_lo
	v_and_b32_e32 v68, -4, v8
	s_mov_b32 s5, exec_lo
	v_cmpx_ne_u32_e32 0, v17
	s_cbranch_execz .LBB6_40
; %bb.37:
	v_and_b32_e32 v8, 0x800, v112
	s_mov_b32 s6, exec_lo
	v_cmpx_eq_u32_e32 0, v8
	s_cbranch_execz .LBB6_39
; %bb.38:
	s_trap 2
	ds_write_b64 v0, v[24:25]
.LBB6_39:
	s_or_b32 exec_lo, exec_lo, s6
	s_waitcnt vmcnt(2) lgkmcnt(2)
	flat_load_dwordx2 v[36:37], v[24:25] offset:56
	s_waitcnt vmcnt(0) lgkmcnt(0)
	flat_load_dwordx2 v[52:53], v[36:37] glc dlc
	s_clause 0x1
	flat_load_dword v113, v[24:25] offset:72
	flat_load_dwordx2 v[38:39], v[24:25] offset:16
.LBB6_40:
	s_or_b32 exec_lo, exec_lo, s5
.LBB6_41:
	s_or_b32 exec_lo, exec_lo, s4
	v_cmp_eq_u32_e64 s4, 0, v0
	s_and_saveexec_b32 s5, s4
	s_cbranch_execz .LBB6_43
; %bb.42:
	s_waitcnt lgkmcnt(0)
	flat_load_dwordx2 v[8:9], v[2:3] offset:32
	ds_write2_b64 v0, v[12:13], v[10:11] offset1:1
	s_trap 2
	s_waitcnt vmcnt(0) lgkmcnt(1)
	ds_write_b64 v0, v[8:9]
	ds_write_b64 v0, v[15:16]
.LBB6_43:
	s_or_b32 exec_lo, exec_lo, s5
	v_mov_b32_e32 v50, 0
	v_mov_b32_e32 v51, 0
	s_mov_b32 s43, exec_lo
	v_cmpx_lt_i64_e32 0, v[22:23]
	s_cbranch_execz .LBB6_1206
; %bb.44:
	buffer_store_dword v24, off, s[0:3], s33 offset:272 ; 4-byte Folded Spill
	buffer_store_dword v25, off, s[0:3], s33 offset:276 ; 4-byte Folded Spill
	flat_load_dword v3, v[2:3] offset:4
	v_lshrrev_b32_e32 v115, 5, v1
	s_ashr_i32 s45, s42, 31
	s_add_u32 s47, s42, -1
	v_and_b32_e32 v118, 0x1fe0, v1
	s_addc_u32 s56, s45, -1
	s_add_i32 s57, s42, s42
	s_not_b32 s11, s42
	s_cmp_gt_i32 s42, 0
	v_lshlrev_b32_e32 v43, 9, v115
	s_cselect_b32 s16, s11, -1
	s_ashr_i32 s17, s15, 31
	v_subrev_nc_u32_e32 v46, 32, v118
	s_add_i32 s58, s16, s57
	s_lshr_b32 s16, s17, 25
	v_add_nc_u32_e32 v56, 0xfffffe00, v43
	s_add_i32 s15, s15, s16
	s_waitcnt lgkmcnt(1)
	v_and_b32_e32 v8, 31, v31
	v_and_b32_e32 v47, 31, v0
	s_ashr_i32 s60, s15, 7
	s_ashr_i32 s59, s58, 31
	v_ashrrev_i32_e32 v57, 31, v46
	s_cmp_gt_i32 s42, 2
	v_ashrrev_i32_e32 v59, 31, v56
	v_mov_b32_e32 v2, 0
	v_lshrrev_b32_e32 v117, 5, v0
	v_cmp_eq_u32_e64 s11, 0, v8
	v_lshlrev_b32_e32 v8, 4, v47
	s_cselect_b32 s61, -1, 0
	s_add_i32 s17, s42, 1
	v_add_co_u32 v60, s16, v46, 32
	v_and_b32_e32 v66, 0x3ffffe00, v14
	v_add_co_ci_u32_e64 v61, null, 0, v57, s16
	v_add_co_u32 v62, s16, 0x200, v56
	v_cmp_ge_u32_e32 vcc_lo, v0, v1
	v_mov_b32_e32 v24, 0
	s_waitcnt vmcnt(2)
	v_cmp_eq_u64_e64 s7, 0, v[48:49]
	v_cmp_ne_u64_e64 s10, 0, v[48:49]
	v_mov_b32_e32 v50, 0
	v_add_co_ci_u32_e64 v63, null, 0, v59, s16
	v_ashrrev_i32_e32 v114, 31, v113
	v_cmp_eq_u32_e64 s5, 32, v1
	v_cmp_ne_u32_e64 s6, 32, v1
	s_waitcnt vmcnt(1)
	v_cmp_ne_u32_sdwa s46, v1, v21 src0_sel:DWORD src1_sel:WORD_0
	buffer_store_dword v1, off, s[0:3], s33 offset:260 ; 4-byte Folded Spill
	v_mov_b32_e32 v25, 0
	v_mov_b32_e32 v119, 1
	;; [unrolled: 1-line block ×6, first 2 shown]
	v_cmp_eq_u32_e64 s12, 0, v47
	v_cmp_lt_u32_e64 s13, v47, v19
	v_lshlrev_b32_e32 v42, 12, v115
	v_lshlrev_b32_e32 v44, 10, v115
	v_cmp_le_u32_e64 s14, v47, v19
	v_lshlrev_b32_e32 v45, 11, v115
	v_lshl_or_b32 v1, v117, 11, v8
	v_lshl_or_b32 v58, v117, 12, v8
	v_mad_i64_i32 v[4:5], null, v66, s42, 0
	s_mov_b32 s44, 0
	buffer_store_dword v31, off, s[0:3], s33 offset:264 ; 4-byte Folded Spill
	buffer_store_dword v21, off, s[0:3], s33 offset:268 ; 4-byte Folded Spill
	;; [unrolled: 1-line block ×3, first 2 shown]
	s_trap 2
	buffer_store_dword v22, off, s[0:3], s33 offset:236 ; 4-byte Folded Spill
	buffer_store_dword v23, off, s[0:3], s33 offset:240 ; 4-byte Folded Spill
	;; [unrolled: 1-line block ×6, first 2 shown]
	s_waitcnt vmcnt(0) lgkmcnt(0)
	v_and_b32_e32 v3, 1, v3
	v_cmp_eq_u32_e64 s15, 1, v3
	s_xor_b32 s62, s15, -1
	s_cmp_ge_i32 s17, s42
	s_cselect_b32 s16, s42, 0
	s_add_i32 s63, s42, -2
	s_sub_i32 s73, s17, s16
	s_xor_b32 s72, vcc_lo, -1
	s_ashr_i32 s40, s45, 31
	s_ashr_i32 s74, s73, 31
	s_sub_i32 s75, 0, s42
	s_branch .LBB6_47
.LBB6_45:                               ;   in Loop: Header=BB6_47 Depth=1
	s_or_b32 exec_lo, exec_lo, s18
.LBB6_46:                               ;   in Loop: Header=BB6_47 Depth=1
	s_or_b32 exec_lo, exec_lo, s17
	s_waitcnt vmcnt(1)
	v_add_co_u32 v24, vcc_lo, v24, v4
	s_waitcnt vmcnt(0)
	v_add_co_ci_u32_e64 v25, null, v25, v5, vcc_lo
	v_cmp_ge_i64_e32 vcc_lo, v[24:25], v[22:23]
	s_or_b32 s44, vcc_lo, s44
	s_andn2_b32 exec_lo, exec_lo, s44
	s_cbranch_execz .LBB6_1205
.LBB6_47:                               ; =>This Loop Header: Depth=1
                                        ;     Child Loop BB6_57 Depth 2
                                        ;       Child Loop BB6_65 Depth 3
                                        ;       Child Loop BB6_89 Depth 3
	;; [unrolled: 1-line block ×9, first 2 shown]
                                        ;     Child Loop BB6_197 Depth 2
                                        ;       Child Loop BB6_203 Depth 3
                                        ;       Child Loop BB6_227 Depth 3
	;; [unrolled: 1-line block ×3, first 2 shown]
                                        ;     Child Loop BB6_269 Depth 2
                                        ;       Child Loop BB6_272 Depth 3
                                        ;         Child Loop BB6_280 Depth 4
                                        ;         Child Loop BB6_308 Depth 4
	;; [unrolled: 1-line block ×9, first 2 shown]
                                        ;       Child Loop BB6_416 Depth 3
                                        ;         Child Loop BB6_422 Depth 4
                                        ;         Child Loop BB6_450 Depth 4
	;; [unrolled: 1-line block ×3, first 2 shown]
                                        ;     Child Loop BB6_491 Depth 2
                                        ;       Child Loop BB6_499 Depth 3
                                        ;       Child Loop BB6_527 Depth 3
	;; [unrolled: 1-line block ×5, first 2 shown]
                                        ;         Child Loop BB6_579 Depth 4
                                        ;       Child Loop BB6_586 Depth 3
                                        ;       Child Loop BB6_591 Depth 3
                                        ;         Child Loop BB6_592 Depth 4
                                        ;       Child Loop BB6_604 Depth 3
                                        ;       Child Loop BB6_609 Depth 3
	;; [unrolled: 1-line block ×6, first 2 shown]
                                        ;     Child Loop BB6_668 Depth 2
                                        ;       Child Loop BB6_674 Depth 3
                                        ;       Child Loop BB6_702 Depth 3
	;; [unrolled: 1-line block ×3, first 2 shown]
                                        ;     Child Loop BB6_743 Depth 2
                                        ;       Child Loop BB6_746 Depth 3
                                        ;         Child Loop BB6_754 Depth 4
                                        ;         Child Loop BB6_782 Depth 4
	;; [unrolled: 1-line block ×5, first 2 shown]
                                        ;           Child Loop BB6_834 Depth 5
                                        ;         Child Loop BB6_841 Depth 4
                                        ;         Child Loop BB6_846 Depth 4
                                        ;           Child Loop BB6_847 Depth 5
                                        ;         Child Loop BB6_859 Depth 4
                                        ;         Child Loop BB6_864 Depth 4
	;; [unrolled: 1-line block ×6, first 2 shown]
                                        ;       Child Loop BB6_923 Depth 3
                                        ;         Child Loop BB6_929 Depth 4
                                        ;         Child Loop BB6_957 Depth 4
	;; [unrolled: 1-line block ×3, first 2 shown]
                                        ;     Child Loop BB6_1001 Depth 2
                                        ;       Child Loop BB6_1009 Depth 3
                                        ;       Child Loop BB6_1033 Depth 3
	;; [unrolled: 1-line block ×9, first 2 shown]
                                        ;     Child Loop BB6_1139 Depth 2
                                        ;       Child Loop BB6_1145 Depth 3
                                        ;       Child Loop BB6_1169 Depth 3
	;; [unrolled: 1-line block ×3, first 2 shown]
	v_sub_co_u32 v8, vcc_lo, v22, v24
	v_sub_co_ci_u32_e64 v9, null, v23, v25, vcc_lo
	s_mov_b32 s17, exec_lo
	buffer_store_dword v8, off, s[0:3], s33 offset:188 ; 4-byte Folded Spill
	buffer_store_dword v9, off, s[0:3], s33 offset:192 ; 4-byte Folded Spill
	v_cmpx_lt_i64_e64 v[8:9], v[4:5]
	s_cbranch_execz .LBB6_53
; %bb.48:                               ;   in Loop: Header=BB6_47 Depth=1
	s_clause 0x1
	buffer_load_dword v8, off, s[0:3], s33 offset:188
	buffer_load_dword v9, off, s[0:3], s33 offset:192
	s_mov_b32 s16, exec_lo
	s_waitcnt vmcnt(1)
	v_add_co_u32 v10, vcc_lo, s47, v8
	s_waitcnt vmcnt(0)
	v_add_co_ci_u32_e64 v11, null, s56, v9, vcc_lo
                                        ; implicit-def: $vgpr8_vgpr9
	v_or_b32_e32 v3, s45, v11
	v_cmpx_ne_u64_e32 0, v[2:3]
	s_xor_b32 s20, exec_lo, s16
	s_cbranch_execz .LBB6_50
; %bb.49:                               ;   in Loop: Header=BB6_47 Depth=1
	s_add_u32 s18, s42, s40
	s_mov_b32 s41, s40
	s_addc_u32 s19, s45, s40
	v_ashrrev_i32_e32 v14, 31, v11
	s_xor_b64 s[18:19], s[18:19], s[40:41]
	v_cvt_f32_u32_e32 v3, s18
	v_cvt_f32_u32_e32 v8, s19
	s_sub_u32 s16, 0, s18
	s_subb_u32 s23, 0, s19
	v_add_co_u32 v9, vcc_lo, v10, v14
	v_fmac_f32_e32 v3, 0x4f800000, v8
	v_xor_b32_e32 v15, v9, v14
	v_rcp_f32_e32 v3, v3
	v_mul_f32_e32 v3, 0x5f7ffffc, v3
	v_mul_f32_e32 v8, 0x2f800000, v3
	v_trunc_f32_e32 v8, v8
	v_fmac_f32_e32 v3, 0xcf800000, v8
	v_cvt_u32_f32_e32 v8, v8
	v_cvt_u32_f32_e32 v3, v3
	v_readfirstlane_b32 s21, v8
	v_readfirstlane_b32 s22, v3
	s_mul_i32 s24, s16, s21
	v_add_co_ci_u32_e64 v3, null, v11, v14, vcc_lo
	s_mul_hi_u32 s26, s16, s22
	s_mul_i32 s25, s23, s22
	s_add_i32 s24, s26, s24
	s_mul_i32 s27, s16, s22
	s_add_i32 s24, s24, s25
	s_mul_hi_u32 s26, s22, s27
	s_mul_i32 s41, s22, s24
	s_mul_hi_u32 s28, s21, s27
	s_mul_i32 s25, s21, s27
	s_mul_hi_u32 s27, s22, s24
	s_add_u32 s26, s26, s41
	s_addc_u32 s27, 0, s27
	s_mul_hi_u32 s76, s21, s24
	s_add_u32 s25, s26, s25
	s_mul_i32 s24, s21, s24
	s_addc_u32 s25, s27, s28
	s_addc_u32 s26, s76, 0
	s_add_u32 s24, s25, s24
	s_addc_u32 s25, 0, s26
	s_add_u32 s22, s22, s24
	s_cselect_b32 s24, -1, 0
	s_mul_hi_u32 s26, s16, s22
	s_cmp_lg_u32 s24, 0
	s_mul_i32 s24, s16, s22
	s_addc_u32 s21, s21, s25
	s_mul_i32 s23, s23, s22
	s_mul_i32 s16, s16, s21
	s_mul_hi_u32 s25, s22, s24
	s_add_i32 s16, s26, s16
	s_mul_hi_u32 s26, s21, s24
	s_add_i32 s16, s16, s23
	s_mul_i32 s23, s21, s24
	s_mul_i32 s28, s22, s16
	s_mul_hi_u32 s27, s22, s16
	s_add_u32 s25, s25, s28
	s_addc_u32 s27, 0, s27
	s_mul_hi_u32 s24, s21, s16
	s_add_u32 s23, s25, s23
	s_mul_i32 s16, s21, s16
	s_addc_u32 s23, s27, s26
	s_addc_u32 s24, s24, 0
	s_add_u32 s16, s23, s16
	s_addc_u32 s23, 0, s24
	s_add_u32 s16, s22, s16
	s_cselect_b32 s22, -1, 0
	v_xor_b32_e32 v3, v3, v14
	s_cmp_lg_u32 s22, 0
	v_mul_hi_u32 v16, v15, s16
	s_addc_u32 s21, s21, s23
	v_mad_u64_u32 v[8:9], null, v15, s21, 0
	v_mad_u64_u32 v[10:11], null, v3, s16, 0
	;; [unrolled: 1-line block ×3, first 2 shown]
	v_add_co_u32 v8, vcc_lo, v16, v8
	v_add_co_ci_u32_e64 v9, null, 0, v9, vcc_lo
	v_add_co_u32 v8, vcc_lo, v8, v10
	v_add_co_ci_u32_e32 v8, vcc_lo, v9, v11, vcc_lo
	v_add_co_ci_u32_e32 v9, vcc_lo, 0, v13, vcc_lo
	v_add_co_u32 v10, vcc_lo, v8, v12
	v_add_co_ci_u32_e64 v11, null, 0, v9, vcc_lo
	v_mul_lo_u32 v12, s19, v10
	v_mad_u64_u32 v[8:9], null, s18, v10, 0
	v_mul_lo_u32 v13, s18, v11
	v_sub_co_u32 v8, vcc_lo, v15, v8
	v_add3_u32 v9, v9, v13, v12
	v_add_co_u32 v13, s16, v10, 2
	v_add_co_ci_u32_e64 v15, null, 0, v11, s16
	v_sub_nc_u32_e32 v12, v3, v9
	v_sub_co_u32 v16, s16, v8, s18
	v_sub_co_ci_u32_e64 v3, null, v3, v9, vcc_lo
	v_subrev_co_ci_u32_e64 v12, null, s19, v12, vcc_lo
	v_cmp_le_u32_e32 vcc_lo, s18, v16
	v_subrev_co_ci_u32_e64 v12, null, 0, v12, s16
	v_cndmask_b32_e64 v9, 0, -1, vcc_lo
	v_cmp_le_u32_e32 vcc_lo, s19, v12
	v_cndmask_b32_e64 v16, 0, -1, vcc_lo
	v_cmp_le_u32_e32 vcc_lo, s18, v8
	;; [unrolled: 2-line block ×3, first 2 shown]
	v_cndmask_b32_e64 v17, 0, -1, vcc_lo
	v_cmp_eq_u32_e32 vcc_lo, s19, v12
	v_cndmask_b32_e32 v9, v16, v9, vcc_lo
	v_add_co_u32 v12, vcc_lo, v10, 1
	v_add_co_ci_u32_e64 v16, null, 0, v11, vcc_lo
	v_cmp_eq_u32_e32 vcc_lo, s19, v3
	v_cndmask_b32_e32 v3, v17, v8, vcc_lo
	v_cmp_ne_u32_e32 vcc_lo, 0, v9
	v_xor_b32_e32 v9, s40, v14
	v_cmp_ne_u32_e64 s16, 0, v3
	v_cndmask_b32_e32 v3, v12, v13, vcc_lo
	v_cndmask_b32_e32 v8, v16, v15, vcc_lo
	v_cndmask_b32_e64 v3, v10, v3, s16
	v_cndmask_b32_e64 v8, v11, v8, s16
	v_xor_b32_e32 v3, v3, v9
	v_xor_b32_e32 v10, v8, v9
	v_sub_co_u32 v8, vcc_lo, v3, v9
	v_sub_co_ci_u32_e64 v9, null, v10, v9, vcc_lo
                                        ; implicit-def: $vgpr10
.LBB6_50:                               ;   in Loop: Header=BB6_47 Depth=1
	s_andn2_saveexec_b32 s16, s20
	s_cbranch_execz .LBB6_52
; %bb.51:                               ;   in Loop: Header=BB6_47 Depth=1
	v_cvt_f32_u32_e32 v3, s42
	v_rcp_iflag_f32_e32 v3, v3
	v_mul_f32_e32 v3, 0x4f7ffffe, v3
	v_cvt_u32_f32_e32 v3, v3
	v_mul_lo_u32 v8, s75, v3
	v_mul_hi_u32 v8, v3, v8
	v_add_nc_u32_e32 v3, v3, v8
	v_mul_hi_u32 v3, v10, v3
	v_mul_lo_u32 v8, v3, s42
	v_add_nc_u32_e32 v9, 1, v3
	v_sub_nc_u32_e32 v8, v10, v8
	v_subrev_nc_u32_e32 v10, s42, v8
	v_cmp_le_u32_e32 vcc_lo, s42, v8
	v_cndmask_b32_e32 v8, v8, v10, vcc_lo
	v_cndmask_b32_e32 v3, v3, v9, vcc_lo
	v_cmp_le_u32_e32 vcc_lo, s42, v8
	v_add_nc_u32_e32 v9, 1, v3
	v_cndmask_b32_e32 v8, v3, v9, vcc_lo
	v_mov_b32_e32 v9, v2
.LBB6_52:                               ;   in Loop: Header=BB6_47 Depth=1
	s_or_b32 exec_lo, exec_lo, s16
	v_add_co_u32 v3, vcc_lo, v8, 15
	v_add_co_ci_u32_e64 v67, null, 0, v9, vcc_lo
	v_and_b32_e32 v66, -16, v3
.LBB6_53:                               ;   in Loop: Header=BB6_47 Depth=1
	s_or_b32 exec_lo, exec_lo, s17
	v_mul_lo_u32 v3, v67, s58
	v_mul_lo_u32 v8, v66, s59
	v_mad_u64_u32 v[10:11], null, v66, s58, 0
	v_mov_b32_e32 v21, 0
	v_add3_u32 v11, v11, v8, v3
	s_clause 0x1
	buffer_load_dword v3, off, s[0:3], s33 offset:188
	buffer_load_dword v4, off, s[0:3], s33 offset:192
	s_waitcnt vmcnt(1)
	v_sub_co_u32 v8, vcc_lo, v3, v10
	s_waitcnt vmcnt(0)
	v_sub_co_ci_u32_e64 v9, null, v4, v11, vcc_lo
	v_cmp_lt_i64_e32 vcc_lo, v[66:67], v[8:9]
	v_cndmask_b32_e32 v8, v8, v66, vcc_lo
	v_max_i32_e32 v20, 0, v8
	v_add_nc_u32_e32 v3, 31, v20
	v_lshrrev_b32_e32 v3, 1, v3
	v_and_b32_e32 v9, 0x3ffffff0, v3
	s_clause 0x1
	buffer_load_dword v3, off, s[0:3], s33 offset:228
	buffer_load_dword v4, off, s[0:3], s33 offset:232
	s_waitcnt vmcnt(1)
	v_add_co_u32 v72, vcc_lo, v24, v3
	buffer_store_dword v24, off, s[0:3], s33 offset:200 ; 4-byte Folded Spill
	buffer_store_dword v25, off, s[0:3], s33 offset:204 ; 4-byte Folded Spill
	v_mov_b32_e32 v3, 0
	s_waitcnt vmcnt(0)
	v_add_co_ci_u32_e64 v73, null, v25, v4, vcc_lo
	v_cmp_lt_i32_e32 vcc_lo, 0, v8
	v_max_i32_e32 v8, s60, v9
	s_and_b32 s16, s72, vcc_lo
	s_and_saveexec_b32 s18, s16
	s_cbranch_execz .LBB6_193
; %bb.54:                               ;   in Loop: Header=BB6_47 Depth=1
	v_mov_b32_e32 v21, 0
	s_mov_b32 s21, 1
	s_mov_b32 s20, -1
	s_mov_b32 s19, 0
	s_branch .LBB6_57
.LBB6_55:                               ;   in Loop: Header=BB6_57 Depth=2
	s_or_b32 exec_lo, exec_lo, s17
	v_add_co_u32 v68, vcc_lo, v68, 2
	v_add_co_ci_u32_e64 v69, null, 0, v69, vcc_lo
	s_waitcnt vmcnt(0) lgkmcnt(0)
	s_waitcnt_vscnt null, 0x0
	flat_store_dwordx2 v[36:37], v[68:69]
.LBB6_56:                               ;   in Loop: Header=BB6_57 Depth=2
	s_or_b32 exec_lo, exec_lo, s16
	v_add_nc_u32_e32 v21, v8, v21
	s_xor_b32 s16, s20, -1
	v_mov_b32_e32 v3, s21
	s_mov_b32 s20, 0
	s_mov_b32 s21, 2
	v_cmp_ge_i32_e32 vcc_lo, v21, v20
	s_or_b32 s16, s16, vcc_lo
	s_and_b32 s16, exec_lo, s16
	s_or_b32 s19, s16, s19
	s_andn2_b32 exec_lo, exec_lo, s19
	s_cbranch_execz .LBB6_192
.LBB6_57:                               ;   Parent Loop BB6_47 Depth=1
                                        ; =>  This Loop Header: Depth=2
                                        ;       Child Loop BB6_65 Depth 3
                                        ;       Child Loop BB6_89 Depth 3
	;; [unrolled: 1-line block ×9, first 2 shown]
	s_and_saveexec_b32 s16, s4
	s_cbranch_execz .LBB6_59
; %bb.58:                               ;   in Loop: Header=BB6_57 Depth=2
	s_trap 2
	ds_read_b64 v[12:13], v0
	s_waitcnt lgkmcnt(0)
	v_add_co_u32 v3, vcc_lo, v12, v72
	v_add_co_ci_u32_e64 v9, null, v13, v73, vcc_lo
	v_ashrrev_i32_e32 v13, 31, v21
	v_add_co_u32 v3, vcc_lo, v3, v10
	v_add_co_ci_u32_e64 v9, null, v9, v11, vcc_lo
	v_add_co_u32 v12, vcc_lo, v3, v21
	v_add_co_ci_u32_e64 v13, null, v9, v13, vcc_lo
	v_mov_b32_e32 v3, v2
	ds_write_b64 v0, v[12:13]
	ds_write_b64 v0, v[2:3]
.LBB6_59:                               ;   in Loop: Header=BB6_57 Depth=2
	s_or_b32 exec_lo, exec_lo, s16
	v_sub_nc_u32_e32 v3, v20, v21
	v_and_b32_e32 v9, 8, v112
	s_mov_b32 s17, exec_lo
	v_min_i32_e32 v8, v8, v3
	v_cmpx_ne_u32_e32 0, v9
	s_cbranch_execz .LBB6_81
; %bb.60:                               ;   in Loop: Header=BB6_57 Depth=2
	s_waitcnt vmcnt(0) lgkmcnt(1)
	v_add_co_u32 v14, vcc_lo, v52, 8
	v_add_co_ci_u32_e64 v15, null, 0, v53, vcc_lo
	v_add_co_u32 v12, vcc_lo, v68, 2
	v_add_co_ci_u32_e64 v13, null, 0, v69, vcc_lo
	s_mov_b32 s22, exec_lo
	v_cmpx_lt_u64_e64 v[14:15], v[12:13]
	s_cbranch_execz .LBB6_72
; %bb.61:                               ;   in Loop: Header=BB6_57 Depth=2
	v_and_b32_e32 v3, 64, v112
	s_mov_b32 s23, 0
	s_mov_b32 s27, 0
                                        ; implicit-def: $sgpr24
                                        ; implicit-def: $sgpr25
                                        ; implicit-def: $sgpr26
	v_cmp_eq_u32_e32 vcc_lo, 0, v3
	s_branch .LBB6_65
.LBB6_62:                               ;   in Loop: Header=BB6_65 Depth=3
	s_waitcnt vmcnt(0) lgkmcnt(0)
	v_add_co_u32 v14, s16, v52, 8
	v_add_co_ci_u32_e64 v15, null, 0, v53, s16
	s_or_b32 s76, s76, exec_lo
	v_cmp_ge_u64_e64 s16, v[14:15], v[12:13]
	s_orn2_b32 s41, s16, exec_lo
.LBB6_63:                               ;   in Loop: Header=BB6_65 Depth=3
	s_or_b32 exec_lo, exec_lo, s78
	s_andn2_b32 s16, s26, exec_lo
	s_and_b32 s26, s76, exec_lo
	s_andn2_b32 s25, s25, exec_lo
	s_and_b32 s41, s41, exec_lo
	s_or_b32 s26, s16, s26
	s_or_b32 s25, s25, s41
.LBB6_64:                               ;   in Loop: Header=BB6_65 Depth=3
	s_or_b32 exec_lo, exec_lo, s28
	s_and_b32 s16, exec_lo, s25
	s_or_b32 s23, s16, s23
	s_andn2_b32 s16, s24, exec_lo
	s_and_b32 s24, s26, exec_lo
	s_or_b32 s24, s16, s24
	s_andn2_b32 exec_lo, exec_lo, s23
	s_cbranch_execz .LBB6_69
.LBB6_65:                               ;   Parent Loop BB6_47 Depth=1
                                        ;     Parent Loop BB6_57 Depth=2
                                        ; =>    This Inner Loop Header: Depth=3
	s_sleep 1
	s_waitcnt vmcnt(0) lgkmcnt(0)
	flat_load_dwordx2 v[52:53], v[36:37] glc dlc
	s_or_b32 s26, s26, exec_lo
	s_or_b32 s25, s25, exec_lo
                                        ; implicit-def: $vgpr3
	s_and_saveexec_b32 s28, vcc_lo
	s_cbranch_execz .LBB6_64
; %bb.66:                               ;   in Loop: Header=BB6_65 Depth=3
	s_cmpk_lt_i32 s27, 0x270f
	s_mov_b32 s41, -1
	s_cselect_b32 s77, -1, 0
	s_cmpk_gt_i32 s27, 0x270e
	s_cbranch_scc0 .LBB6_68
; %bb.67:                               ;   in Loop: Header=BB6_65 Depth=3
	s_trap 2
	ds_read_b64 v[14:15], v0
	s_andn2_b32 s27, s77, exec_lo
	s_mov_b32 s76, 0
	s_waitcnt vmcnt(0) lgkmcnt(0)
	s_waitcnt_vscnt null, 0x0
	flat_load_dword v3, v[14:15] glc dlc
	s_waitcnt vmcnt(0) lgkmcnt(0)
	buffer_gl1_inv
	buffer_gl0_inv
	v_cmp_eq_u32_e64 s16, 0, v3
	s_and_b32 s16, s16, exec_lo
	s_or_b32 s77, s27, s16
	s_mov_b32 s27, 0
	s_and_saveexec_b32 s78, s77
	s_cbranch_execz .LBB6_63
	s_branch .LBB6_62
.LBB6_68:                               ;   in Loop: Header=BB6_65 Depth=3
	s_add_i32 s27, s27, 1
	s_mov_b32 s76, -1
                                        ; implicit-def: $vgpr3
	s_and_saveexec_b32 s78, s77
	s_cbranch_execz .LBB6_63
	s_branch .LBB6_62
.LBB6_69:                               ;   in Loop: Header=BB6_57 Depth=2
	s_or_b32 exec_lo, exec_lo, s23
	s_xor_b32 s16, s24, -1
	s_and_saveexec_b32 s23, s16
	s_xor_b32 s16, exec_lo, s23
	s_cbranch_execz .LBB6_71
; %bb.70:                               ;   in Loop: Header=BB6_57 Depth=2
	v_or_b32_e32 v112, 64, v112
	s_waitcnt vmcnt(0) lgkmcnt(0)
	s_waitcnt_vscnt null, 0x0
	ds_write_b32 v0, v3
	s_trap 2
.LBB6_71:                               ;   in Loop: Header=BB6_57 Depth=2
	s_or_b32 exec_lo, exec_lo, s16
.LBB6_72:                               ;   in Loop: Header=BB6_57 Depth=2
	s_or_b32 exec_lo, exec_lo, s22
	v_and_b32_e32 v3, 0x100, v112
	s_mov_b32 s16, -1
	;;#ASMSTART
	s_wakeup
	;;#ASMEND
                                        ; implicit-def: $vgpr14_vgpr15
	v_cmp_ne_u32_e32 vcc_lo, 0, v3
	v_and_b32_e32 v3, 7, v68
	s_and_saveexec_b32 s22, vcc_lo
	s_cbranch_execz .LBB6_76
; %bb.73:                               ;   in Loop: Header=BB6_57 Depth=2
	v_mad_u64_u32 v[16:17], null, v3, 24, v[6:7]
	v_ashrrev_i32_e32 v9, 31, v8
	flat_load_dword v14, v[16:17]
	flat_store_dwordx2 v[16:17], v[8:9] offset:8
	s_waitcnt vmcnt(0) lgkmcnt(1)
	v_cmp_eq_u32_e64 s16, 1, v14
	v_cmp_ne_u32_e32 vcc_lo, 1, v14
                                        ; implicit-def: $vgpr14_vgpr15
	s_and_saveexec_b32 s23, s16
	s_cbranch_execz .LBB6_75
; %bb.74:                               ;   in Loop: Header=BB6_57 Depth=2
	flat_load_dword v14, v[16:17] offset:4 glc dlc
	s_waitcnt vmcnt(0) lgkmcnt(0)
	v_ashrrev_i32_e32 v15, 31, v14
.LBB6_75:                               ;   in Loop: Header=BB6_57 Depth=2
	s_or_b32 exec_lo, exec_lo, s23
	s_orn2_b32 s16, vcc_lo, exec_lo
.LBB6_76:                               ;   in Loop: Header=BB6_57 Depth=2
	s_or_b32 exec_lo, exec_lo, s22
	s_and_saveexec_b32 s22, s16
; %bb.77:                               ;   in Loop: Header=BB6_57 Depth=2
	v_mad_i64_i32 v[14:15], null, v3, v113, 0
; %bb.78:                               ;   in Loop: Header=BB6_57 Depth=2
	s_or_b32 exec_lo, exec_lo, s22
	v_add_co_u32 v14, vcc_lo, v38, v14
	v_and_b32_e32 v3, 0x2000, v112
	v_add_co_ci_u32_e64 v15, null, v39, v15, vcc_lo
	s_mov_b32 s16, exec_lo
	ds_write_b64 v0, v[14:15] offset:784
	v_cmpx_ne_u32_e32 0, v3
	s_cbranch_execz .LBB6_80
; %bb.79:                               ;   in Loop: Header=BB6_57 Depth=2
	ds_read_b64 v[14:15], v0 offset:872
	s_waitcnt lgkmcnt(0)
	v_add_co_u32 v14, vcc_lo, v14, 1
	v_add_co_ci_u32_e64 v15, null, 0, v15, vcc_lo
	ds_write_b64 v0, v[14:15] offset:872
.LBB6_80:                               ;   in Loop: Header=BB6_57 Depth=2
	s_or_b32 exec_lo, exec_lo, s16
	v_mov_b32_e32 v69, v13
	v_mov_b32_e32 v68, v12
.LBB6_81:                               ;   in Loop: Header=BB6_57 Depth=2
	s_or_b32 exec_lo, exec_lo, s17
	s_and_saveexec_b32 s16, s6
	s_cbranch_execz .LBB6_100
; %bb.82:                               ;   in Loop: Header=BB6_57 Depth=2
	s_and_saveexec_b32 s17, s46
	s_xor_b32 s17, exec_lo, s17
	s_cbranch_execz .LBB6_97
; %bb.83:                               ;   in Loop: Header=BB6_57 Depth=2
	s_and_saveexec_b32 s22, s11
	s_cbranch_execz .LBB6_96
; %bb.84:                               ;   in Loop: Header=BB6_57 Depth=2
	s_mov_b32 s24, exec_lo
	s_mov_b32 s23, exec_lo
	v_mbcnt_lo_u32_b32 v3, s24, 0
	s_waitcnt vmcnt(0) lgkmcnt(0)
	s_waitcnt_vscnt null, 0x0
	buffer_gl1_inv
	buffer_gl0_inv
	v_cmpx_eq_u32_e32 0, v3
	s_cbranch_execz .LBB6_86
; %bb.85:                               ;   in Loop: Header=BB6_57 Depth=2
	s_bcnt1_i32_b32 s24, s24
	v_mov_b32_e32 v13, v2
	v_mov_b32_e32 v12, s24
	ds_add_u64 v0, v[12:13]
	s_trap 2
.LBB6_86:                               ;   in Loop: Header=BB6_57 Depth=2
	s_or_b32 exec_lo, exec_lo, s23
	s_trap 2
	ds_read_b64 v[12:13], v0
	s_waitcnt lgkmcnt(0)
	buffer_gl0_inv
	v_add_co_u32 v50, vcc_lo, v50, v115
	v_add_co_ci_u32_e64 v51, null, 0, v51, vcc_lo
	s_mov_b32 s23, exec_lo
	v_cmpx_lt_u64_e64 v[12:13], v[50:51]
	s_cbranch_execz .LBB6_95
; %bb.87:                               ;   in Loop: Header=BB6_57 Depth=2
	s_mov_b32 s24, 0
	s_mov_b32 s27, 0
                                        ; implicit-def: $sgpr25
                                        ; implicit-def: $sgpr26
	s_inst_prefetch 0x1
	s_branch .LBB6_89
	.p2align	6
.LBB6_88:                               ;   in Loop: Header=BB6_89 Depth=3
	s_or_b32 exec_lo, exec_lo, s41
	s_and_b32 s28, exec_lo, s76
	s_or_b32 s24, s28, s24
	s_andn2_b32 s25, s25, exec_lo
	s_and_b32 s28, s26, exec_lo
	s_or_b32 s25, s25, s28
	s_andn2_b32 exec_lo, exec_lo, s24
	s_cbranch_execz .LBB6_93
.LBB6_89:                               ;   Parent Loop BB6_47 Depth=1
                                        ;     Parent Loop BB6_57 Depth=2
                                        ; =>    This Inner Loop Header: Depth=3
	s_add_i32 s27, s27, 1
	s_cmpk_lg_i32 s27, 0x2710
	s_cselect_b32 s28, -1, 0
	s_and_b32 vcc_lo, exec_lo, s28
	s_cbranch_vccz .LBB6_91
; %bb.90:                               ;   in Loop: Header=BB6_89 Depth=3
	s_mov_b32 s76, -1
	s_or_b32 s26, s26, exec_lo
	s_and_saveexec_b32 s41, s28
	s_cbranch_execz .LBB6_88
	s_branch .LBB6_92
	.p2align	6
.LBB6_91:                               ;   in Loop: Header=BB6_89 Depth=3
	s_trap 2
	ds_read_b64 v[12:13], v0
	s_andn2_b32 s28, s28, exec_lo
	s_mov_b32 s27, 0
	s_waitcnt lgkmcnt(0)
	flat_load_dword v3, v[12:13] glc dlc
	s_waitcnt vmcnt(0) lgkmcnt(0)
	buffer_gl1_inv
	buffer_gl0_inv
	v_cmp_eq_u32_e32 vcc_lo, 0, v3
	s_and_b32 s41, vcc_lo, exec_lo
	s_or_b32 s28, s28, s41
	s_mov_b32 s76, -1
	s_or_b32 s26, s26, exec_lo
	s_and_saveexec_b32 s41, s28
	s_cbranch_execz .LBB6_88
.LBB6_92:                               ;   in Loop: Header=BB6_89 Depth=3
	s_sleep 1
	s_trap 2
	ds_read_b64 v[12:13], v0
	s_waitcnt lgkmcnt(0)
	buffer_gl0_inv
	s_andn2_b32 s26, s26, exec_lo
	v_cmp_ge_u64_e32 vcc_lo, v[12:13], v[50:51]
	s_orn2_b32 s76, vcc_lo, exec_lo
	s_branch .LBB6_88
.LBB6_93:                               ;   in Loop: Header=BB6_57 Depth=2
	s_inst_prefetch 0x2
	s_or_b32 exec_lo, exec_lo, s24
	s_and_saveexec_b32 s24, s25
	s_xor_b32 s24, exec_lo, s24
	s_cbranch_execz .LBB6_95
; %bb.94:                               ;   in Loop: Header=BB6_57 Depth=2
	ds_write_b32 v0, v119
	s_trap 2
.LBB6_95:                               ;   in Loop: Header=BB6_57 Depth=2
	s_or_b32 exec_lo, exec_lo, s23
	;;#ASMSTART
	s_wakeup
	;;#ASMEND
.LBB6_96:                               ;   in Loop: Header=BB6_57 Depth=2
	s_or_b32 exec_lo, exec_lo, s22
.LBB6_97:                               ;   in Loop: Header=BB6_57 Depth=2
	s_andn2_saveexec_b32 s17, s17
	s_cbranch_execz .LBB6_99
; %bb.98:                               ;   in Loop: Header=BB6_57 Depth=2
	s_waitcnt vmcnt(0) lgkmcnt(0)
	s_waitcnt_vscnt null, 0x0
	buffer_gl1_inv
	buffer_gl0_inv
	s_barrier
.LBB6_99:                               ;   in Loop: Header=BB6_57 Depth=2
	s_or_b32 exec_lo, exec_lo, s17
.LBB6_100:                              ;   in Loop: Header=BB6_57 Depth=2
	s_or_b32 exec_lo, exec_lo, s16
	s_trap 2
	ds_read_b32 v3, v0
	v_and_b32_e32 v9, 0x4000, v112
	s_xor_b32 s16, s5, -1
	v_cmp_ne_u32_e32 vcc_lo, 0, v9
	s_and_b32 s17, s16, vcc_lo
	s_and_saveexec_b32 s16, s17
	s_cbranch_execz .LBB6_119
; %bb.101:                              ;   in Loop: Header=BB6_57 Depth=2
	s_and_saveexec_b32 s17, s46
	s_xor_b32 s17, exec_lo, s17
	s_cbranch_execz .LBB6_116
; %bb.102:                              ;   in Loop: Header=BB6_57 Depth=2
	s_and_saveexec_b32 s22, s11
	s_cbranch_execz .LBB6_115
; %bb.103:                              ;   in Loop: Header=BB6_57 Depth=2
	s_mov_b32 s24, exec_lo
	s_mov_b32 s23, exec_lo
	v_mbcnt_lo_u32_b32 v9, s24, 0
	s_waitcnt vmcnt(0) lgkmcnt(0)
	s_waitcnt_vscnt null, 0x0
	buffer_gl1_inv
	buffer_gl0_inv
	v_cmpx_eq_u32_e32 0, v9
	s_cbranch_execz .LBB6_105
; %bb.104:                              ;   in Loop: Header=BB6_57 Depth=2
	s_bcnt1_i32_b32 s24, s24
	v_mov_b32_e32 v13, v2
	v_mov_b32_e32 v12, s24
	ds_add_u64 v0, v[12:13]
	s_trap 2
.LBB6_105:                              ;   in Loop: Header=BB6_57 Depth=2
	s_or_b32 exec_lo, exec_lo, s23
	s_trap 2
	ds_read_b64 v[12:13], v0
	s_waitcnt lgkmcnt(0)
	buffer_gl0_inv
	v_add_co_u32 v50, vcc_lo, v50, v115
	v_add_co_ci_u32_e64 v51, null, 0, v51, vcc_lo
	s_mov_b32 s23, exec_lo
	v_cmpx_lt_u64_e64 v[12:13], v[50:51]
	s_cbranch_execz .LBB6_114
; %bb.106:                              ;   in Loop: Header=BB6_57 Depth=2
	s_mov_b32 s24, 0
	s_mov_b32 s27, 0
                                        ; implicit-def: $sgpr25
                                        ; implicit-def: $sgpr26
	s_inst_prefetch 0x1
	s_branch .LBB6_108
	.p2align	6
.LBB6_107:                              ;   in Loop: Header=BB6_108 Depth=3
	s_or_b32 exec_lo, exec_lo, s41
	s_and_b32 s28, exec_lo, s76
	s_or_b32 s24, s28, s24
	s_andn2_b32 s25, s25, exec_lo
	s_and_b32 s28, s26, exec_lo
	s_or_b32 s25, s25, s28
	s_andn2_b32 exec_lo, exec_lo, s24
	s_cbranch_execz .LBB6_112
.LBB6_108:                              ;   Parent Loop BB6_47 Depth=1
                                        ;     Parent Loop BB6_57 Depth=2
                                        ; =>    This Inner Loop Header: Depth=3
	s_add_i32 s27, s27, 1
	s_cmpk_lg_i32 s27, 0x2710
	s_cselect_b32 s28, -1, 0
	s_and_b32 vcc_lo, exec_lo, s28
	s_cbranch_vccz .LBB6_110
; %bb.109:                              ;   in Loop: Header=BB6_108 Depth=3
	s_mov_b32 s76, -1
	s_or_b32 s26, s26, exec_lo
	s_and_saveexec_b32 s41, s28
	s_cbranch_execz .LBB6_107
	s_branch .LBB6_111
	.p2align	6
.LBB6_110:                              ;   in Loop: Header=BB6_108 Depth=3
	s_trap 2
	ds_read_b64 v[12:13], v0
	s_andn2_b32 s28, s28, exec_lo
	s_mov_b32 s27, 0
	s_waitcnt lgkmcnt(0)
	flat_load_dword v9, v[12:13] glc dlc
	s_waitcnt vmcnt(0) lgkmcnt(0)
	buffer_gl1_inv
	buffer_gl0_inv
	v_cmp_eq_u32_e32 vcc_lo, 0, v9
	s_and_b32 s41, vcc_lo, exec_lo
	s_or_b32 s28, s28, s41
	s_mov_b32 s76, -1
	s_or_b32 s26, s26, exec_lo
	s_and_saveexec_b32 s41, s28
	s_cbranch_execz .LBB6_107
.LBB6_111:                              ;   in Loop: Header=BB6_108 Depth=3
	s_sleep 1
	s_trap 2
	ds_read_b64 v[12:13], v0
	s_waitcnt lgkmcnt(0)
	buffer_gl0_inv
	s_andn2_b32 s26, s26, exec_lo
	v_cmp_ge_u64_e32 vcc_lo, v[12:13], v[50:51]
	s_orn2_b32 s76, vcc_lo, exec_lo
	s_branch .LBB6_107
.LBB6_112:                              ;   in Loop: Header=BB6_57 Depth=2
	s_inst_prefetch 0x2
	s_or_b32 exec_lo, exec_lo, s24
	s_and_saveexec_b32 s24, s25
	s_xor_b32 s24, exec_lo, s24
	s_cbranch_execz .LBB6_114
; %bb.113:                              ;   in Loop: Header=BB6_57 Depth=2
	ds_write_b32 v0, v119
	s_trap 2
.LBB6_114:                              ;   in Loop: Header=BB6_57 Depth=2
	s_or_b32 exec_lo, exec_lo, s23
	;;#ASMSTART
	s_wakeup
	;;#ASMEND
.LBB6_115:                              ;   in Loop: Header=BB6_57 Depth=2
	s_or_b32 exec_lo, exec_lo, s22
.LBB6_116:                              ;   in Loop: Header=BB6_57 Depth=2
	s_andn2_saveexec_b32 s17, s17
	s_cbranch_execz .LBB6_118
; %bb.117:                              ;   in Loop: Header=BB6_57 Depth=2
	s_waitcnt vmcnt(0) lgkmcnt(0)
	s_waitcnt_vscnt null, 0x0
	buffer_gl1_inv
	buffer_gl0_inv
	s_barrier
.LBB6_118:                              ;   in Loop: Header=BB6_57 Depth=2
	s_or_b32 exec_lo, exec_lo, s17
.LBB6_119:                              ;   in Loop: Header=BB6_57 Depth=2
	s_or_b32 exec_lo, exec_lo, s16
	s_trap 2
	ds_read_b64 v[12:13], v0
	s_waitcnt lgkmcnt(0)
	v_cmp_eq_u64_e32 vcc_lo, 0, v[12:13]
	s_cbranch_vccnz .LBB6_127
; %bb.120:                              ;   in Loop: Header=BB6_57 Depth=2
	s_trap 2
	ds_read_b64 v[14:15], v0
	s_waitcnt lgkmcnt(0)
	v_cmp_eq_u64_e32 vcc_lo, 0, v[14:15]
	s_cbranch_vccnz .LBB6_127
; %bb.121:                              ;   in Loop: Header=BB6_57 Depth=2
	s_mov_b32 s16, -1
	s_and_saveexec_b32 s17, s12
	s_cbranch_execz .LBB6_123
; %bb.122:                              ;   in Loop: Header=BB6_57 Depth=2
	ds_read_b32 v9, v0 offset:720
	s_waitcnt lgkmcnt(0)
	v_and_b32_e32 v9, 15, v9
	v_cmp_eq_u32_e32 vcc_lo, 0, v9
	s_orn2_b32 s16, vcc_lo, exec_lo
.LBB6_123:                              ;   in Loop: Header=BB6_57 Depth=2
	s_or_b32 exec_lo, exec_lo, s17
	s_and_saveexec_b32 s17, s13
	s_cbranch_execz .LBB6_125
; %bb.124:                              ;   in Loop: Header=BB6_57 Depth=2
	ds_read_b32 v9, v0 offset:784
	s_waitcnt lgkmcnt(0)
	v_and_b32_e32 v9, 15, v9
	v_cmp_eq_u32_e32 vcc_lo, 0, v9
	s_and_b32 s22, s16, vcc_lo
	s_andn2_b32 s16, s16, exec_lo
	s_and_b32 s22, s22, exec_lo
	s_or_b32 s16, s16, s22
.LBB6_125:                              ;   in Loop: Header=BB6_57 Depth=2
	s_or_b32 exec_lo, exec_lo, s17
	v_cmp_eq_u32_e32 vcc_lo, 0, v3
	s_xor_b32 s16, s16, -1
	v_mov_b32_e32 v17, v0
	v_cndmask_b32_e64 v9, 0, 1, s16
	s_mov_b32 s16, -1
	v_cndmask_b32_e32 v3, 0, v8, vcc_lo
	v_cmp_ne_u32_e32 vcc_lo, 0, v9
	v_mov_b32_e32 v9, 0
	v_mov_b32_e32 v16, v3
	s_cbranch_vccz .LBB6_132
; %bb.126:                              ;   in Loop: Header=BB6_57 Depth=2
	s_and_saveexec_b32 s17, s16
	s_cbranch_execnz .LBB6_143
	s_branch .LBB6_151
.LBB6_127:                              ;   in Loop: Header=BB6_57 Depth=2
	s_mov_b32 s16, 0
	s_and_saveexec_b32 s17, s6
	s_cbranch_execnz .LBB6_152
.LBB6_128:                              ;   in Loop: Header=BB6_57 Depth=2
	s_or_b32 exec_lo, exec_lo, s17
                                        ; implicit-def: $vgpr3
	s_and_saveexec_b32 s17, s15
	s_xor_b32 s17, exec_lo, s17
	s_cbranch_execz .LBB6_170
.LBB6_129:                              ;   in Loop: Header=BB6_57 Depth=2
	v_and_b32_e32 v3, 16, v112
	v_cmp_ne_u32_e32 vcc_lo, 0, v3
	v_and_b32_e32 v3, 16, v112
	s_and_b32 s22, vcc_lo, s16
	s_and_saveexec_b32 s16, s22
	s_cbranch_execz .LBB6_131
; %bb.130:                              ;   in Loop: Header=BB6_57 Depth=2
	v_mov_b32_e32 v3, 1
	s_waitcnt vmcnt(0) lgkmcnt(0)
	s_waitcnt_vscnt null, 0x0
	buffer_gl1_inv
	buffer_gl0_inv
.LBB6_131:                              ;   in Loop: Header=BB6_57 Depth=2
	s_or_b32 exec_lo, exec_lo, s16
	s_andn2_saveexec_b32 s16, s17
	s_cbranch_execz .LBB6_189
	s_branch .LBB6_171
.LBB6_132:                              ;   in Loop: Header=BB6_57 Depth=2
	v_ashrrev_i32_e32 v9, 31, v3
	s_mov_b32 s17, exec_lo
	v_lshrrev_b32_e32 v9, 20, v9
	v_add_nc_u32_e32 v9, v3, v9
	v_ashrrev_i32_e32 v9, 12, v9
	v_sub_nc_u32_e32 v22, v9, v117
	v_cmpx_lt_i32_e32 0, v22
	s_cbranch_execz .LBB6_136
; %bb.133:                              ;   in Loop: Header=BB6_57 Depth=2
	v_mov_b32_e32 v17, v15
	v_mov_b32_e32 v19, v13
	;; [unrolled: 1-line block ×4, first 2 shown]
	s_mov_b32 s22, 0
.LBB6_134:                              ;   Parent Loop BB6_47 Depth=1
                                        ;     Parent Loop BB6_57 Depth=2
                                        ; =>    This Inner Loop Header: Depth=3
	v_add_co_u32 v84, vcc_lo, v58, v18
	v_add_co_ci_u32_e64 v85, null, 0, v19, vcc_lo
	v_sub_nc_u32_e32 v22, v22, v115
	v_add_co_u32 v78, vcc_lo, 0x800, v84
	v_add_co_ci_u32_e64 v79, null, 0, v85, vcc_lo
	s_clause 0x3
	global_load_dwordx4 v[23:26], v[84:85], off slc
	global_load_dwordx4 v[32:35], v[84:85], off offset:512 slc
	global_load_dwordx4 v[80:83], v[84:85], off offset:1024 slc
	;; [unrolled: 1-line block ×3, first 2 shown]
	s_clause 0x3
	global_load_dwordx4 v[96:99], v[78:79], off slc
	global_load_dwordx4 v[100:103], v[78:79], off offset:512 slc
	global_load_dwordx4 v[74:77], v[78:79], off offset:1024 slc
	;; [unrolled: 1-line block ×3, first 2 shown]
	v_add_co_u32 v78, vcc_lo, v58, v16
	v_add_co_ci_u32_e64 v79, null, 0, v17, vcc_lo
	v_add_co_u32 v18, vcc_lo, v18, v42
	v_add_co_ci_u32_e64 v19, null, 0, v19, vcc_lo
	;; [unrolled: 2-line block ×3, first 2 shown]
	v_cmp_gt_i32_e32 vcc_lo, 1, v22
	v_add_co_u32 v92, s16, 0x800, v78
	v_add_co_ci_u32_e64 v93, null, 0, v79, s16
	s_or_b32 s22, vcc_lo, s22
	s_waitcnt vmcnt(7)
	global_store_dwordx4 v[78:79], v[23:26], off glc slc
	s_waitcnt vmcnt(6)
	global_store_dwordx4 v[78:79], v[32:35], off offset:512 glc slc
	s_waitcnt vmcnt(5)
	global_store_dwordx4 v[78:79], v[80:83], off offset:1024 glc slc
	;; [unrolled: 2-line block ×3, first 2 shown]
	s_waitcnt vmcnt(3)
	global_store_dwordx4 v[92:93], v[96:99], off glc slc
	s_waitcnt vmcnt(2)
	global_store_dwordx4 v[92:93], v[100:103], off offset:512 glc slc
	s_waitcnt vmcnt(1)
	global_store_dwordx4 v[92:93], v[74:77], off offset:1024 glc slc
	;; [unrolled: 2-line block ×3, first 2 shown]
	s_andn2_b32 exec_lo, exec_lo, s22
	s_cbranch_execnz .LBB6_134
; %bb.135:                              ;   in Loop: Header=BB6_57 Depth=2
	s_or_b32 exec_lo, exec_lo, s22
.LBB6_136:                              ;   in Loop: Header=BB6_57 Depth=2
	s_or_b32 exec_lo, exec_lo, s17
	v_lshlrev_b32_e32 v18, 12, v9
	v_mov_b32_e32 v9, 0
	s_mov_b32 s16, 0
	s_mov_b32 s22, exec_lo
                                        ; implicit-def: $vgpr16
                                        ; implicit-def: $vgpr17
	v_cmpx_ne_u32_e64 v3, v18
	s_cbranch_execz .LBB6_142
; %bb.137:                              ;   in Loop: Header=BB6_57 Depth=2
	v_lshlrev_b32_e32 v9, 5, v22
	v_sub_nc_u32_e32 v19, v3, v18
	s_mov_b32 s23, exec_lo
	v_sub_nc_u32_e32 v9, v47, v9
	v_ashrrev_i32_e32 v17, 31, v19
	v_ashrrev_i32_e32 v16, 31, v9
	v_lshrrev_b32_e32 v17, 23, v17
	v_lshrrev_b32_e32 v16, 27, v16
	v_add_nc_u32_e32 v23, v19, v17
	v_add_nc_u32_e32 v16, v9, v16
	v_ashrrev_i32_e32 v25, 9, v23
	v_and_b32_e32 v22, 0xffffffe0, v16
	v_ashrrev_i32_e32 v24, 5, v16
	v_sub_nc_u32_e32 v17, v9, v22
	v_and_b32_e32 v9, 0xfffffe00, v23
	v_lshlrev_b32_e32 v22, 4, v17
	v_sub_nc_u32_e32 v16, v19, v9
	v_lshl_add_u32 v23, v24, 9, v22
	v_cmp_lt_i32_e32 vcc_lo, 15, v16
	v_sub_nc_u32_e32 v22, v19, v23
	v_add_co_ci_u32_e64 v25, null, 0, v25, vcc_lo
	v_sub_nc_u32_e32 v19, v25, v24
	v_cmpx_lt_i32_e32 15, v22
	s_cbranch_execz .LBB6_141
; %bb.138:                              ;   in Loop: Header=BB6_57 Depth=2
	v_add_nc_u32_e32 v23, v23, v18
	s_mov_b32 s24, 0
	v_ashrrev_i32_e32 v24, 31, v23
	.p2align	6
.LBB6_139:                              ;   Parent Loop BB6_47 Depth=1
                                        ;     Parent Loop BB6_57 Depth=2
                                        ; =>    This Inner Loop Header: Depth=3
	v_add_co_u32 v25, s16, v12, v23
	v_add_co_ci_u32_e64 v26, null, v13, v24, s16
	v_sub_nc_u32_e32 v22, v22, v43
	v_sub_nc_u32_e32 v19, v19, v115
	global_load_dwordx4 v[32:35], v[25:26], off slc
	v_add_co_u32 v25, s16, v14, v23
	v_add_co_ci_u32_e64 v26, null, v15, v24, s16
	v_cmp_gt_i32_e64 s16, 16, v22
	v_add_co_u32 v23, s17, v23, v43
	v_add_co_ci_u32_e64 v24, null, 0, v24, s17
	s_or_b32 s24, s16, s24
	s_waitcnt vmcnt(0)
	global_store_dwordx4 v[25:26], v[32:35], off glc slc
	s_andn2_b32 exec_lo, exec_lo, s24
	s_cbranch_execnz .LBB6_139
; %bb.140:                              ;   in Loop: Header=BB6_57 Depth=2
	s_or_b32 exec_lo, exec_lo, s24
.LBB6_141:                              ;   in Loop: Header=BB6_57 Depth=2
	s_or_b32 exec_lo, exec_lo, s23
	v_and_b32_e32 v22, 15, v3
	v_cmp_lt_i32_e64 s16, 0, v19
	v_sub_nc_u32_e32 v23, v16, v22
	v_cndmask_b32_e64 v24, 0, v115, s16
	v_cndmask_b32_e32 v16, v16, v22, vcc_lo
	v_cndmask_b32_e32 v22, 0, v23, vcc_lo
	v_sub_nc_u32_e32 v19, v24, v19
	v_cmp_ne_u32_e32 vcc_lo, 0, v16
	v_add3_u32 v9, v9, v18, v22
	v_lshl_add_u32 v17, v19, 5, v17
	s_and_b32 s16, vcc_lo, exec_lo
.LBB6_142:                              ;   in Loop: Header=BB6_57 Depth=2
	s_or_b32 exec_lo, exec_lo, s22
	s_and_saveexec_b32 s17, s16
	s_cbranch_execz .LBB6_151
.LBB6_143:                              ;   in Loop: Header=BB6_57 Depth=2
	v_ashrrev_i32_e32 v18, 31, v17
	v_ashrrev_i32_e32 v19, 31, v16
	s_mov_b32 s16, exec_lo
	v_lshrrev_b32_e32 v18, 27, v18
	v_lshrrev_b32_e32 v19, 22, v19
	v_add_nc_u32_e32 v23, v17, v18
	v_add_nc_u32_e32 v19, v16, v19
	v_ashrrev_i32_e32 v18, 5, v23
	v_ashrrev_i32_e32 v22, 10, v19
	v_sub_nc_u32_e32 v19, v22, v18
	v_cmpx_lt_i32_e32 0, v19
	s_cbranch_execz .LBB6_147
; %bb.144:                              ;   in Loop: Header=BB6_57 Depth=2
	v_and_b32_e32 v23, 0xffffffe0, v23
	v_lshlrev_b32_e32 v24, 10, v18
	s_mov_b32 s22, 0
	v_sub_nc_u32_e32 v23, v17, v23
	v_add3_u32 v23, v9, v23, v24
	v_ashrrev_i32_e32 v24, 31, v23
.LBB6_145:                              ;   Parent Loop BB6_47 Depth=1
                                        ;     Parent Loop BB6_57 Depth=2
                                        ; =>    This Inner Loop Header: Depth=3
	v_add_co_u32 v25, vcc_lo, v23, v12
	v_add_co_ci_u32_e64 v26, null, v24, v13, vcc_lo
	v_sub_nc_u32_e32 v19, v19, v115
	s_clause 0x1f
	flat_load_ubyte v27, v[25:26] slc
	flat_load_ubyte v30, v[25:26] offset:32 slc
	flat_load_ubyte v32, v[25:26] offset:64 slc
	;; [unrolled: 1-line block ×31, first 2 shown]
	v_add_co_u32 v25, vcc_lo, v23, v14
	v_add_co_ci_u32_e64 v26, null, v24, v15, vcc_lo
	v_add_co_u32 v12, vcc_lo, v12, v44
	v_add_co_ci_u32_e64 v13, null, 0, v13, vcc_lo
	;; [unrolled: 2-line block ×3, first 2 shown]
	v_cmp_gt_i32_e32 vcc_lo, 1, v19
	s_waitcnt vmcnt(31) lgkmcnt(31)
	flat_store_byte v[25:26], v27 glc slc
	s_waitcnt vmcnt(30) lgkmcnt(31)
	flat_store_byte v[25:26], v30 offset:32 glc slc
	s_waitcnt vmcnt(29) lgkmcnt(31)
	flat_store_byte v[25:26], v32 offset:64 glc slc
	s_waitcnt vmcnt(28) lgkmcnt(31)
	flat_store_byte v[25:26], v33 offset:96 glc slc
	s_waitcnt vmcnt(27) lgkmcnt(31)
	flat_store_byte v[25:26], v34 offset:128 glc slc
	s_waitcnt vmcnt(26) lgkmcnt(31)
	flat_store_byte v[25:26], v35 offset:160 glc slc
	s_waitcnt vmcnt(25) lgkmcnt(31)
	flat_store_byte v[25:26], v80 offset:192 glc slc
	s_waitcnt vmcnt(24) lgkmcnt(31)
	flat_store_byte v[25:26], v81 offset:224 glc slc
	s_waitcnt vmcnt(23) lgkmcnt(31)
	flat_store_byte v[25:26], v82 offset:256 glc slc
	s_waitcnt vmcnt(22) lgkmcnt(31)
	flat_store_byte v[25:26], v83 offset:288 glc slc
	s_waitcnt vmcnt(21) lgkmcnt(31)
	flat_store_byte v[25:26], v84 offset:320 glc slc
	s_waitcnt vmcnt(20) lgkmcnt(31)
	flat_store_byte v[25:26], v85 offset:352 glc slc
	s_waitcnt vmcnt(19) lgkmcnt(31)
	flat_store_byte v[25:26], v86 offset:384 glc slc
	s_waitcnt vmcnt(18) lgkmcnt(31)
	flat_store_byte v[25:26], v87 offset:416 glc slc
	s_waitcnt vmcnt(17) lgkmcnt(31)
	flat_store_byte v[25:26], v96 offset:448 glc slc
	s_waitcnt vmcnt(16) lgkmcnt(31)
	flat_store_byte v[25:26], v97 offset:480 glc slc
	s_waitcnt vmcnt(15) lgkmcnt(31)
	flat_store_byte v[25:26], v98 offset:512 glc slc
	s_waitcnt vmcnt(14) lgkmcnt(31)
	flat_store_byte v[25:26], v99 offset:544 glc slc
	s_waitcnt vmcnt(13) lgkmcnt(31)
	flat_store_byte v[25:26], v100 offset:576 glc slc
	s_waitcnt vmcnt(12) lgkmcnt(31)
	flat_store_byte v[25:26], v101 offset:608 glc slc
	s_waitcnt vmcnt(11) lgkmcnt(31)
	flat_store_byte v[25:26], v102 offset:640 glc slc
	s_waitcnt vmcnt(10) lgkmcnt(31)
	flat_store_byte v[25:26], v103 offset:672 glc slc
	s_waitcnt vmcnt(9) lgkmcnt(31)
	flat_store_byte v[25:26], v74 offset:704 glc slc
	s_waitcnt vmcnt(8) lgkmcnt(31)
	flat_store_byte v[25:26], v75 offset:736 glc slc
	s_waitcnt vmcnt(7) lgkmcnt(31)
	flat_store_byte v[25:26], v76 offset:768 glc slc
	s_waitcnt vmcnt(6) lgkmcnt(31)
	flat_store_byte v[25:26], v77 offset:800 glc slc
	s_waitcnt vmcnt(5) lgkmcnt(31)
	flat_store_byte v[25:26], v78 offset:832 glc slc
	s_waitcnt vmcnt(4) lgkmcnt(31)
	flat_store_byte v[25:26], v79 offset:864 glc slc
	s_waitcnt vmcnt(3) lgkmcnt(31)
	flat_store_byte v[25:26], v88 offset:896 glc slc
	s_waitcnt vmcnt(2) lgkmcnt(31)
	flat_store_byte v[25:26], v89 offset:928 glc slc
	s_waitcnt vmcnt(1) lgkmcnt(31)
	flat_store_byte v[25:26], v90 offset:960 glc slc
	s_waitcnt vmcnt(0) lgkmcnt(31)
	flat_store_byte v[25:26], v91 offset:992 glc slc
	s_or_b32 s22, vcc_lo, s22
	s_andn2_b32 exec_lo, exec_lo, s22
	s_cbranch_execnz .LBB6_145
; %bb.146:                              ;   in Loop: Header=BB6_57 Depth=2
	s_or_b32 exec_lo, exec_lo, s22
.LBB6_147:                              ;   in Loop: Header=BB6_57 Depth=2
	s_or_b32 exec_lo, exec_lo, s16
	v_lshlrev_b32_e32 v12, 10, v22
	v_cmp_ne_u32_e32 vcc_lo, v16, v12
	s_and_b32 exec_lo, exec_lo, vcc_lo
	s_cbranch_execz .LBB6_151
; %bb.148:                              ;   in Loop: Header=BB6_57 Depth=2
	v_lshlrev_b32_e32 v13, 5, v18
	v_lshlrev_b32_e32 v14, 5, v19
	v_sub_nc_u32_e32 v13, v17, v13
	v_sub_nc_u32_e32 v13, v13, v14
	v_add_nc_u32_e32 v15, v12, v13
	v_sub_nc_u32_e32 v14, v16, v15
	v_cmp_lt_i32_e32 vcc_lo, 0, v14
	s_and_b32 exec_lo, exec_lo, vcc_lo
	s_cbranch_execz .LBB6_151
; %bb.149:                              ;   in Loop: Header=BB6_57 Depth=2
	s_trap 2
	ds_read_b64 v[12:13], v0
	v_add_nc_u32_e32 v9, v15, v9
	s_mov_b32 s22, 0
	v_ashrrev_i32_e32 v15, 31, v9
	.p2align	6
.LBB6_150:                              ;   Parent Loop BB6_47 Depth=1
                                        ;     Parent Loop BB6_57 Depth=2
                                        ; =>    This Inner Loop Header: Depth=3
	s_waitcnt lgkmcnt(0)
	v_add_co_u32 v16, vcc_lo, v12, v9
	v_add_co_ci_u32_e64 v17, null, v13, v15, vcc_lo
	v_sub_nc_u32_e32 v14, v14, v118
	v_add_co_u32 v9, s16, v9, v118
	flat_load_ubyte v18, v[16:17] slc
	v_add_co_ci_u32_e64 v15, null, 0, v15, s16
	v_cmp_gt_i32_e32 vcc_lo, 1, v14
	s_or_b32 s22, vcc_lo, s22
	s_waitcnt vmcnt(0) lgkmcnt(0)
	flat_store_byte v[16:17], v18 glc slc
	s_andn2_b32 exec_lo, exec_lo, s22
	s_cbranch_execnz .LBB6_150
.LBB6_151:                              ;   in Loop: Header=BB6_57 Depth=2
	s_or_b32 exec_lo, exec_lo, s17
	v_cmp_lt_i32_e64 s16, 0, v3
	s_and_saveexec_b32 s17, s6
	s_cbranch_execz .LBB6_128
.LBB6_152:                              ;   in Loop: Header=BB6_57 Depth=2
	s_and_saveexec_b32 s22, s46
	s_xor_b32 s22, exec_lo, s22
	s_cbranch_execz .LBB6_167
; %bb.153:                              ;   in Loop: Header=BB6_57 Depth=2
	s_and_saveexec_b32 s23, s11
	s_cbranch_execz .LBB6_166
; %bb.154:                              ;   in Loop: Header=BB6_57 Depth=2
	s_mov_b32 s25, exec_lo
	s_mov_b32 s24, exec_lo
	v_mbcnt_lo_u32_b32 v3, s25, 0
	s_waitcnt vmcnt(0) lgkmcnt(0)
	s_waitcnt_vscnt null, 0x0
	buffer_gl1_inv
	buffer_gl0_inv
	v_cmpx_eq_u32_e32 0, v3
	s_cbranch_execz .LBB6_156
; %bb.155:                              ;   in Loop: Header=BB6_57 Depth=2
	s_bcnt1_i32_b32 s25, s25
	v_mov_b32_e32 v13, v2
	v_mov_b32_e32 v12, s25
	ds_add_u64 v0, v[12:13]
	s_trap 2
.LBB6_156:                              ;   in Loop: Header=BB6_57 Depth=2
	s_or_b32 exec_lo, exec_lo, s24
	s_trap 2
	ds_read_b64 v[12:13], v0
	s_waitcnt lgkmcnt(0)
	buffer_gl0_inv
	v_add_co_u32 v50, vcc_lo, v50, v115
	v_add_co_ci_u32_e64 v51, null, 0, v51, vcc_lo
	s_mov_b32 s24, exec_lo
	v_cmpx_lt_u64_e64 v[12:13], v[50:51]
	s_cbranch_execz .LBB6_165
; %bb.157:                              ;   in Loop: Header=BB6_57 Depth=2
	s_mov_b32 s25, 0
	s_mov_b32 s28, 0
                                        ; implicit-def: $sgpr26
                                        ; implicit-def: $sgpr27
	s_inst_prefetch 0x1
	s_branch .LBB6_159
	.p2align	6
.LBB6_158:                              ;   in Loop: Header=BB6_159 Depth=3
	s_or_b32 exec_lo, exec_lo, s76
	s_and_b32 s41, exec_lo, s77
	s_or_b32 s25, s41, s25
	s_andn2_b32 s26, s26, exec_lo
	s_and_b32 s41, s27, exec_lo
	s_or_b32 s26, s26, s41
	s_andn2_b32 exec_lo, exec_lo, s25
	s_cbranch_execz .LBB6_163
.LBB6_159:                              ;   Parent Loop BB6_47 Depth=1
                                        ;     Parent Loop BB6_57 Depth=2
                                        ; =>    This Inner Loop Header: Depth=3
	s_add_i32 s28, s28, 1
	s_cmpk_lg_i32 s28, 0x2710
	s_cselect_b32 s41, -1, 0
	s_and_b32 vcc_lo, exec_lo, s41
	s_cbranch_vccz .LBB6_161
; %bb.160:                              ;   in Loop: Header=BB6_159 Depth=3
	s_mov_b32 s77, -1
	s_or_b32 s27, s27, exec_lo
	s_and_saveexec_b32 s76, s41
	s_cbranch_execz .LBB6_158
	s_branch .LBB6_162
	.p2align	6
.LBB6_161:                              ;   in Loop: Header=BB6_159 Depth=3
	s_trap 2
	ds_read_b64 v[12:13], v0
	s_andn2_b32 s41, s41, exec_lo
	s_mov_b32 s28, 0
	s_waitcnt lgkmcnt(0)
	flat_load_dword v3, v[12:13] glc dlc
	s_waitcnt vmcnt(0) lgkmcnt(0)
	buffer_gl1_inv
	buffer_gl0_inv
	v_cmp_eq_u32_e32 vcc_lo, 0, v3
	s_and_b32 s76, vcc_lo, exec_lo
	s_or_b32 s41, s41, s76
	s_mov_b32 s77, -1
	s_or_b32 s27, s27, exec_lo
	s_and_saveexec_b32 s76, s41
	s_cbranch_execz .LBB6_158
.LBB6_162:                              ;   in Loop: Header=BB6_159 Depth=3
	s_sleep 1
	s_trap 2
	ds_read_b64 v[12:13], v0
	s_waitcnt lgkmcnt(0)
	buffer_gl0_inv
	s_andn2_b32 s27, s27, exec_lo
	v_cmp_ge_u64_e32 vcc_lo, v[12:13], v[50:51]
	s_orn2_b32 s77, vcc_lo, exec_lo
	s_branch .LBB6_158
.LBB6_163:                              ;   in Loop: Header=BB6_57 Depth=2
	s_inst_prefetch 0x2
	s_or_b32 exec_lo, exec_lo, s25
	s_and_saveexec_b32 s25, s26
	s_xor_b32 s25, exec_lo, s25
	s_cbranch_execz .LBB6_165
; %bb.164:                              ;   in Loop: Header=BB6_57 Depth=2
	ds_write_b32 v0, v119
	s_trap 2
.LBB6_165:                              ;   in Loop: Header=BB6_57 Depth=2
	s_or_b32 exec_lo, exec_lo, s24
	;;#ASMSTART
	s_wakeup
	;;#ASMEND
.LBB6_166:                              ;   in Loop: Header=BB6_57 Depth=2
	s_or_b32 exec_lo, exec_lo, s23
.LBB6_167:                              ;   in Loop: Header=BB6_57 Depth=2
	s_andn2_saveexec_b32 s22, s22
	s_cbranch_execz .LBB6_169
; %bb.168:                              ;   in Loop: Header=BB6_57 Depth=2
	s_waitcnt vmcnt(0) lgkmcnt(0)
	s_waitcnt_vscnt null, 0x0
	buffer_gl1_inv
	buffer_gl0_inv
	s_barrier
.LBB6_169:                              ;   in Loop: Header=BB6_57 Depth=2
	s_or_b32 exec_lo, exec_lo, s22
	s_or_b32 exec_lo, exec_lo, s17
                                        ; implicit-def: $vgpr3
	s_and_saveexec_b32 s17, s15
	s_xor_b32 s17, exec_lo, s17
	s_cbranch_execnz .LBB6_129
.LBB6_170:                              ;   in Loop: Header=BB6_57 Depth=2
	s_andn2_saveexec_b32 s16, s17
	s_cbranch_execz .LBB6_189
.LBB6_171:                              ;   in Loop: Header=BB6_57 Depth=2
	s_and_saveexec_b32 s17, s46
	s_xor_b32 s17, exec_lo, s17
	s_cbranch_execz .LBB6_186
; %bb.172:                              ;   in Loop: Header=BB6_57 Depth=2
	s_and_saveexec_b32 s22, s11
	s_cbranch_execz .LBB6_185
; %bb.173:                              ;   in Loop: Header=BB6_57 Depth=2
	s_mov_b32 s24, exec_lo
	s_mov_b32 s23, exec_lo
	v_mbcnt_lo_u32_b32 v3, s24, 0
	;;#ASMSTART
	s_waitcnt lgkmcnt(0) vmcnt(0)
	;;#ASMEND
	v_cmpx_eq_u32_e32 0, v3
	s_cbranch_execz .LBB6_175
; %bb.174:                              ;   in Loop: Header=BB6_57 Depth=2
	s_bcnt1_i32_b32 s24, s24
	v_mov_b32_e32 v13, v2
	v_mov_b32_e32 v12, s24
	s_waitcnt vmcnt(0) lgkmcnt(0)
	s_waitcnt_vscnt null, 0x0
	ds_add_u64 v0, v[12:13]
	s_trap 2
.LBB6_175:                              ;   in Loop: Header=BB6_57 Depth=2
	s_or_b32 exec_lo, exec_lo, s23
	s_trap 2
	ds_read_b64 v[12:13], v0
	s_waitcnt vmcnt(0) lgkmcnt(0)
	buffer_gl0_inv
	v_add_co_u32 v50, vcc_lo, v50, v115
	v_add_co_ci_u32_e64 v51, null, 0, v51, vcc_lo
	s_mov_b32 s23, exec_lo
	v_cmpx_lt_u64_e64 v[12:13], v[50:51]
	s_cbranch_execz .LBB6_184
; %bb.176:                              ;   in Loop: Header=BB6_57 Depth=2
	s_mov_b32 s24, 0
	s_mov_b32 s27, 0
                                        ; implicit-def: $sgpr25
                                        ; implicit-def: $sgpr26
	s_inst_prefetch 0x1
	s_branch .LBB6_178
	.p2align	6
.LBB6_177:                              ;   in Loop: Header=BB6_178 Depth=3
	s_or_b32 exec_lo, exec_lo, s41
	s_and_b32 s28, exec_lo, s76
	s_or_b32 s24, s28, s24
	s_andn2_b32 s25, s25, exec_lo
	s_and_b32 s28, s26, exec_lo
	s_or_b32 s25, s25, s28
	s_andn2_b32 exec_lo, exec_lo, s24
	s_cbranch_execz .LBB6_182
.LBB6_178:                              ;   Parent Loop BB6_47 Depth=1
                                        ;     Parent Loop BB6_57 Depth=2
                                        ; =>    This Inner Loop Header: Depth=3
	s_add_i32 s27, s27, 1
	s_cmpk_lg_i32 s27, 0x2710
	s_cselect_b32 s28, -1, 0
	s_and_b32 vcc_lo, exec_lo, s28
	s_cbranch_vccz .LBB6_180
; %bb.179:                              ;   in Loop: Header=BB6_178 Depth=3
	s_mov_b32 s76, -1
	s_or_b32 s26, s26, exec_lo
	s_and_saveexec_b32 s41, s28
	s_cbranch_execz .LBB6_177
	s_branch .LBB6_181
	.p2align	6
.LBB6_180:                              ;   in Loop: Header=BB6_178 Depth=3
	s_trap 2
	ds_read_b64 v[12:13], v0
	s_andn2_b32 s28, s28, exec_lo
	s_mov_b32 s27, 0
	s_waitcnt lgkmcnt(0)
	s_waitcnt_vscnt null, 0x0
	flat_load_dword v3, v[12:13] glc dlc
	s_waitcnt vmcnt(0) lgkmcnt(0)
	buffer_gl1_inv
	buffer_gl0_inv
	v_cmp_eq_u32_e32 vcc_lo, 0, v3
	s_and_b32 s41, vcc_lo, exec_lo
	s_or_b32 s28, s28, s41
	s_mov_b32 s76, -1
	s_or_b32 s26, s26, exec_lo
	s_and_saveexec_b32 s41, s28
	s_cbranch_execz .LBB6_177
.LBB6_181:                              ;   in Loop: Header=BB6_178 Depth=3
	s_sleep 1
	s_trap 2
	ds_read_b64 v[12:13], v0
	s_waitcnt lgkmcnt(0)
	buffer_gl0_inv
	s_andn2_b32 s26, s26, exec_lo
	v_cmp_ge_u64_e32 vcc_lo, v[12:13], v[50:51]
	s_orn2_b32 s76, vcc_lo, exec_lo
	s_branch .LBB6_177
.LBB6_182:                              ;   in Loop: Header=BB6_57 Depth=2
	s_inst_prefetch 0x2
	s_or_b32 exec_lo, exec_lo, s24
	s_and_saveexec_b32 s24, s25
	s_xor_b32 s24, exec_lo, s24
	s_cbranch_execz .LBB6_184
; %bb.183:                              ;   in Loop: Header=BB6_57 Depth=2
	ds_write_b32 v0, v119
	s_trap 2
.LBB6_184:                              ;   in Loop: Header=BB6_57 Depth=2
	s_or_b32 exec_lo, exec_lo, s23
	;;#ASMSTART
	s_wakeup
	;;#ASMEND
.LBB6_185:                              ;   in Loop: Header=BB6_57 Depth=2
	s_or_b32 exec_lo, exec_lo, s22
.LBB6_186:                              ;   in Loop: Header=BB6_57 Depth=2
	s_andn2_saveexec_b32 s17, s17
	s_cbranch_execz .LBB6_188
; %bb.187:                              ;   in Loop: Header=BB6_57 Depth=2
	;;#ASMSTART
	s_waitcnt lgkmcnt(0) vmcnt(0)
	;;#ASMEND
	s_barrier
.LBB6_188:                              ;   in Loop: Header=BB6_57 Depth=2
	s_or_b32 exec_lo, exec_lo, s17
	v_and_b32_e32 v3, 16, v112
.LBB6_189:                              ;   in Loop: Header=BB6_57 Depth=2
	s_or_b32 exec_lo, exec_lo, s16
	s_mov_b32 s16, exec_lo
	v_cmpx_ne_u32_e32 0, v3
	s_cbranch_execz .LBB6_56
; %bb.190:                              ;   in Loop: Header=BB6_57 Depth=2
	s_and_saveexec_b32 s17, s10
	s_cbranch_execz .LBB6_55
; %bb.191:                              ;   in Loop: Header=BB6_57 Depth=2
	s_waitcnt vmcnt(0) lgkmcnt(0)
	s_waitcnt_vscnt null, 0x0
	flat_store_dword v[48:49], v119
	s_branch .LBB6_55
.LBB6_192:                              ;   in Loop: Header=BB6_47 Depth=1
	s_or_b32 exec_lo, exec_lo, s19
.LBB6_193:                              ;   in Loop: Header=BB6_47 Depth=1
	s_or_b32 exec_lo, exec_lo, s18
	s_mov_b32 s17, exec_lo
	v_cmpx_gt_i32_e32 2, v3
	s_cbranch_execz .LBB6_265
; %bb.194:                              ;   in Loop: Header=BB6_47 Depth=1
	v_cmp_eq_u32_e64 s19, 0, v3
	s_mov_b32 s18, 0
	s_branch .LBB6_197
.LBB6_195:                              ;   in Loop: Header=BB6_197 Depth=2
	s_or_b32 exec_lo, exec_lo, s19
	v_add_co_u32 v68, vcc_lo, v68, 2
	v_add_co_ci_u32_e64 v69, null, 0, v69, vcc_lo
	s_waitcnt vmcnt(0) lgkmcnt(0)
	s_waitcnt_vscnt null, 0x0
	flat_store_dwordx2 v[36:37], v[68:69]
.LBB6_196:                              ;   in Loop: Header=BB6_197 Depth=2
	s_or_b32 exec_lo, exec_lo, s16
	v_add_nc_u32_e32 v21, v8, v21
	s_mov_b32 s19, 0
	s_andn2_b32 exec_lo, exec_lo, s18
	s_cbranch_execz .LBB6_264
.LBB6_197:                              ;   Parent Loop BB6_47 Depth=1
                                        ; =>  This Loop Header: Depth=2
                                        ;       Child Loop BB6_203 Depth 3
                                        ;       Child Loop BB6_227 Depth 3
	;; [unrolled: 1-line block ×3, first 2 shown]
	v_sub_nc_u32_e32 v3, v20, v21
	v_and_b32_e32 v9, 8, v112
	s_mov_b32 s20, exec_lo
	v_min_i32_e32 v8, v8, v3
	v_cmpx_ne_u32_e32 0, v9
	s_cbranch_execz .LBB6_219
; %bb.198:                              ;   in Loop: Header=BB6_197 Depth=2
	s_waitcnt vmcnt(0) lgkmcnt(1)
	v_add_co_u32 v12, vcc_lo, v52, 8
	v_add_co_ci_u32_e64 v13, null, 0, v53, vcc_lo
	v_add_co_u32 v10, vcc_lo, v68, 2
	v_add_co_ci_u32_e64 v11, null, 0, v69, vcc_lo
	s_mov_b32 s21, exec_lo
	v_cmpx_lt_u64_e64 v[12:13], v[10:11]
	s_cbranch_execz .LBB6_210
; %bb.199:                              ;   in Loop: Header=BB6_197 Depth=2
	v_and_b32_e32 v3, 64, v112
	s_mov_b32 s22, 0
	s_mov_b32 s26, 0
                                        ; implicit-def: $sgpr23
                                        ; implicit-def: $sgpr24
                                        ; implicit-def: $sgpr25
	v_cmp_eq_u32_e32 vcc_lo, 0, v3
	s_branch .LBB6_203
.LBB6_200:                              ;   in Loop: Header=BB6_203 Depth=3
	s_waitcnt vmcnt(0) lgkmcnt(0)
	v_add_co_u32 v12, s16, v52, 8
	v_add_co_ci_u32_e64 v13, null, 0, v53, s16
	s_or_b32 s41, s41, exec_lo
	v_cmp_ge_u64_e64 s16, v[12:13], v[10:11]
	s_orn2_b32 s28, s16, exec_lo
.LBB6_201:                              ;   in Loop: Header=BB6_203 Depth=3
	s_or_b32 exec_lo, exec_lo, s77
	s_andn2_b32 s16, s25, exec_lo
	s_and_b32 s25, s41, exec_lo
	s_andn2_b32 s24, s24, exec_lo
	s_and_b32 s28, s28, exec_lo
	s_or_b32 s25, s16, s25
	s_or_b32 s24, s24, s28
.LBB6_202:                              ;   in Loop: Header=BB6_203 Depth=3
	s_or_b32 exec_lo, exec_lo, s27
	s_and_b32 s16, exec_lo, s24
	s_or_b32 s22, s16, s22
	s_andn2_b32 s16, s23, exec_lo
	s_and_b32 s23, s25, exec_lo
	s_or_b32 s23, s16, s23
	s_andn2_b32 exec_lo, exec_lo, s22
	s_cbranch_execz .LBB6_207
.LBB6_203:                              ;   Parent Loop BB6_47 Depth=1
                                        ;     Parent Loop BB6_197 Depth=2
                                        ; =>    This Inner Loop Header: Depth=3
	s_sleep 1
	s_waitcnt vmcnt(0) lgkmcnt(0)
	flat_load_dwordx2 v[52:53], v[36:37] glc dlc
	s_or_b32 s25, s25, exec_lo
	s_or_b32 s24, s24, exec_lo
                                        ; implicit-def: $vgpr3
	s_and_saveexec_b32 s27, vcc_lo
	s_cbranch_execz .LBB6_202
; %bb.204:                              ;   in Loop: Header=BB6_203 Depth=3
	s_cmpk_lt_i32 s26, 0x270f
	s_mov_b32 s28, -1
	s_cselect_b32 s76, -1, 0
	s_cmpk_gt_i32 s26, 0x270e
	s_cbranch_scc0 .LBB6_206
; %bb.205:                              ;   in Loop: Header=BB6_203 Depth=3
	s_trap 2
	ds_read_b64 v[12:13], v0
	s_andn2_b32 s26, s76, exec_lo
	s_mov_b32 s41, 0
	s_waitcnt vmcnt(0) lgkmcnt(0)
	s_waitcnt_vscnt null, 0x0
	flat_load_dword v3, v[12:13] glc dlc
	s_waitcnt vmcnt(0) lgkmcnt(0)
	buffer_gl1_inv
	buffer_gl0_inv
	v_cmp_eq_u32_e64 s16, 0, v3
	s_and_b32 s16, s16, exec_lo
	s_or_b32 s76, s26, s16
	s_mov_b32 s26, 0
	s_and_saveexec_b32 s77, s76
	s_cbranch_execz .LBB6_201
	s_branch .LBB6_200
.LBB6_206:                              ;   in Loop: Header=BB6_203 Depth=3
	s_add_i32 s26, s26, 1
	s_mov_b32 s41, -1
                                        ; implicit-def: $vgpr3
	s_and_saveexec_b32 s77, s76
	s_cbranch_execz .LBB6_201
	s_branch .LBB6_200
.LBB6_207:                              ;   in Loop: Header=BB6_197 Depth=2
	s_or_b32 exec_lo, exec_lo, s22
	s_xor_b32 s16, s23, -1
	s_and_saveexec_b32 s22, s16
	s_xor_b32 s16, exec_lo, s22
	s_cbranch_execz .LBB6_209
; %bb.208:                              ;   in Loop: Header=BB6_197 Depth=2
	v_or_b32_e32 v112, 64, v112
	s_waitcnt vmcnt(0) lgkmcnt(0)
	s_waitcnt_vscnt null, 0x0
	ds_write_b32 v0, v3
	s_trap 2
.LBB6_209:                              ;   in Loop: Header=BB6_197 Depth=2
	s_or_b32 exec_lo, exec_lo, s16
.LBB6_210:                              ;   in Loop: Header=BB6_197 Depth=2
	s_or_b32 exec_lo, exec_lo, s21
	v_and_b32_e32 v3, 0x100, v112
	s_mov_b32 s16, -1
	;;#ASMSTART
	s_wakeup
	;;#ASMEND
                                        ; implicit-def: $vgpr12_vgpr13
	v_cmp_ne_u32_e32 vcc_lo, 0, v3
	v_and_b32_e32 v3, 7, v68
	s_and_saveexec_b32 s21, vcc_lo
	s_cbranch_execz .LBB6_214
; %bb.211:                              ;   in Loop: Header=BB6_197 Depth=2
	v_mad_u64_u32 v[14:15], null, v3, 24, v[6:7]
	v_ashrrev_i32_e32 v9, 31, v8
	flat_load_dword v12, v[14:15]
	flat_store_dwordx2 v[14:15], v[8:9] offset:8
	s_waitcnt vmcnt(0) lgkmcnt(1)
	v_cmp_eq_u32_e64 s16, 1, v12
	v_cmp_ne_u32_e32 vcc_lo, 1, v12
                                        ; implicit-def: $vgpr12_vgpr13
	s_and_saveexec_b32 s22, s16
	s_cbranch_execz .LBB6_213
; %bb.212:                              ;   in Loop: Header=BB6_197 Depth=2
	flat_load_dword v12, v[14:15] offset:4 glc dlc
	s_waitcnt vmcnt(0) lgkmcnt(0)
	v_ashrrev_i32_e32 v13, 31, v12
.LBB6_213:                              ;   in Loop: Header=BB6_197 Depth=2
	s_or_b32 exec_lo, exec_lo, s22
	s_orn2_b32 s16, vcc_lo, exec_lo
.LBB6_214:                              ;   in Loop: Header=BB6_197 Depth=2
	s_or_b32 exec_lo, exec_lo, s21
	s_and_saveexec_b32 s21, s16
; %bb.215:                              ;   in Loop: Header=BB6_197 Depth=2
	v_mad_i64_i32 v[12:13], null, v3, v113, 0
; %bb.216:                              ;   in Loop: Header=BB6_197 Depth=2
	s_or_b32 exec_lo, exec_lo, s21
	v_add_co_u32 v12, vcc_lo, v38, v12
	v_and_b32_e32 v3, 0x2000, v112
	v_add_co_ci_u32_e64 v13, null, v39, v13, vcc_lo
	s_mov_b32 s16, exec_lo
	ds_write_b64 v0, v[12:13] offset:784
	v_cmpx_ne_u32_e32 0, v3
	s_cbranch_execz .LBB6_218
; %bb.217:                              ;   in Loop: Header=BB6_197 Depth=2
	ds_read_b64 v[12:13], v0 offset:872
	s_waitcnt lgkmcnt(0)
	v_add_co_u32 v12, vcc_lo, v12, 1
	v_add_co_ci_u32_e64 v13, null, 0, v13, vcc_lo
	ds_write_b64 v0, v[12:13] offset:872
.LBB6_218:                              ;   in Loop: Header=BB6_197 Depth=2
	s_or_b32 exec_lo, exec_lo, s16
	v_mov_b32_e32 v69, v11
	v_mov_b32_e32 v68, v10
.LBB6_219:                              ;   in Loop: Header=BB6_197 Depth=2
	s_or_b32 exec_lo, exec_lo, s20
	s_xor_b32 s16, s19, -1
	s_and_b32 s16, exec_lo, s16
	s_or_b32 s18, s16, s18
	s_and_saveexec_b32 s16, s6
	s_cbranch_execz .LBB6_238
; %bb.220:                              ;   in Loop: Header=BB6_197 Depth=2
	s_and_saveexec_b32 s19, s46
	s_xor_b32 s19, exec_lo, s19
	s_cbranch_execz .LBB6_235
; %bb.221:                              ;   in Loop: Header=BB6_197 Depth=2
	s_and_saveexec_b32 s20, s11
	s_cbranch_execz .LBB6_234
; %bb.222:                              ;   in Loop: Header=BB6_197 Depth=2
	s_mov_b32 s22, exec_lo
	s_mov_b32 s21, exec_lo
	v_mbcnt_lo_u32_b32 v3, s22, 0
	s_waitcnt vmcnt(0) lgkmcnt(0)
	s_waitcnt_vscnt null, 0x0
	buffer_gl1_inv
	buffer_gl0_inv
	v_cmpx_eq_u32_e32 0, v3
	s_cbranch_execz .LBB6_224
; %bb.223:                              ;   in Loop: Header=BB6_197 Depth=2
	s_bcnt1_i32_b32 s22, s22
	v_mov_b32_e32 v10, v2
	v_mov_b32_e32 v9, s22
	ds_add_u64 v0, v[9:10]
	s_trap 2
.LBB6_224:                              ;   in Loop: Header=BB6_197 Depth=2
	s_or_b32 exec_lo, exec_lo, s21
	s_trap 2
	ds_read_b64 v[9:10], v0
	s_waitcnt lgkmcnt(0)
	buffer_gl0_inv
	v_add_co_u32 v50, vcc_lo, v50, v115
	v_add_co_ci_u32_e64 v51, null, 0, v51, vcc_lo
	s_mov_b32 s21, exec_lo
	v_cmpx_lt_u64_e64 v[9:10], v[50:51]
	s_cbranch_execz .LBB6_233
; %bb.225:                              ;   in Loop: Header=BB6_197 Depth=2
	s_mov_b32 s22, 0
	s_mov_b32 s25, 0
                                        ; implicit-def: $sgpr23
                                        ; implicit-def: $sgpr24
	s_inst_prefetch 0x1
	s_branch .LBB6_227
	.p2align	6
.LBB6_226:                              ;   in Loop: Header=BB6_227 Depth=3
	s_or_b32 exec_lo, exec_lo, s27
	s_and_b32 s26, exec_lo, s28
	s_or_b32 s22, s26, s22
	s_andn2_b32 s23, s23, exec_lo
	s_and_b32 s26, s24, exec_lo
	s_or_b32 s23, s23, s26
	s_andn2_b32 exec_lo, exec_lo, s22
	s_cbranch_execz .LBB6_231
.LBB6_227:                              ;   Parent Loop BB6_47 Depth=1
                                        ;     Parent Loop BB6_197 Depth=2
                                        ; =>    This Inner Loop Header: Depth=3
	s_add_i32 s25, s25, 1
	s_cmpk_lg_i32 s25, 0x2710
	s_cselect_b32 s26, -1, 0
	s_and_b32 vcc_lo, exec_lo, s26
	s_cbranch_vccz .LBB6_229
; %bb.228:                              ;   in Loop: Header=BB6_227 Depth=3
	s_mov_b32 s28, -1
	s_or_b32 s24, s24, exec_lo
	s_and_saveexec_b32 s27, s26
	s_cbranch_execz .LBB6_226
	s_branch .LBB6_230
	.p2align	6
.LBB6_229:                              ;   in Loop: Header=BB6_227 Depth=3
	s_trap 2
	ds_read_b64 v[9:10], v0
	s_andn2_b32 s26, s26, exec_lo
	s_mov_b32 s25, 0
	s_waitcnt lgkmcnt(0)
	flat_load_dword v3, v[9:10] glc dlc
	s_waitcnt vmcnt(0) lgkmcnt(0)
	buffer_gl1_inv
	buffer_gl0_inv
	v_cmp_eq_u32_e32 vcc_lo, 0, v3
	s_and_b32 s27, vcc_lo, exec_lo
	s_or_b32 s26, s26, s27
	s_mov_b32 s28, -1
	s_or_b32 s24, s24, exec_lo
	s_and_saveexec_b32 s27, s26
	s_cbranch_execz .LBB6_226
.LBB6_230:                              ;   in Loop: Header=BB6_227 Depth=3
	s_sleep 1
	s_trap 2
	ds_read_b64 v[9:10], v0
	s_waitcnt lgkmcnt(0)
	buffer_gl0_inv
	s_andn2_b32 s24, s24, exec_lo
	v_cmp_ge_u64_e32 vcc_lo, v[9:10], v[50:51]
	s_orn2_b32 s28, vcc_lo, exec_lo
	s_branch .LBB6_226
.LBB6_231:                              ;   in Loop: Header=BB6_197 Depth=2
	s_inst_prefetch 0x2
	s_or_b32 exec_lo, exec_lo, s22
	s_and_saveexec_b32 s22, s23
	s_xor_b32 s22, exec_lo, s22
	s_cbranch_execz .LBB6_233
; %bb.232:                              ;   in Loop: Header=BB6_197 Depth=2
	ds_write_b32 v0, v119
	s_trap 2
.LBB6_233:                              ;   in Loop: Header=BB6_197 Depth=2
	s_or_b32 exec_lo, exec_lo, s21
	;;#ASMSTART
	s_wakeup
	;;#ASMEND
.LBB6_234:                              ;   in Loop: Header=BB6_197 Depth=2
	s_or_b32 exec_lo, exec_lo, s20
.LBB6_235:                              ;   in Loop: Header=BB6_197 Depth=2
	s_andn2_saveexec_b32 s19, s19
	s_cbranch_execz .LBB6_237
; %bb.236:                              ;   in Loop: Header=BB6_197 Depth=2
	s_waitcnt vmcnt(0) lgkmcnt(0)
	s_waitcnt_vscnt null, 0x0
	buffer_gl1_inv
	buffer_gl0_inv
	s_barrier
.LBB6_237:                              ;   in Loop: Header=BB6_197 Depth=2
	s_or_b32 exec_lo, exec_lo, s19
.LBB6_238:                              ;   in Loop: Header=BB6_197 Depth=2
	s_or_b32 exec_lo, exec_lo, s16
                                        ; implicit-def: $vgpr3
	s_and_saveexec_b32 s16, s15
	s_xor_b32 s19, exec_lo, s16
	s_cbranch_execz .LBB6_242
; %bb.239:                              ;   in Loop: Header=BB6_197 Depth=2
	s_trap 2
	ds_read_b32 v3, v0
	v_cmp_lt_i32_e32 vcc_lo, 0, v8
	s_waitcnt lgkmcnt(0)
	v_readfirstlane_b32 s16, v3
	v_and_b32_e32 v3, 16, v112
	s_cmp_eq_u32 s16, 0
	v_cmp_ne_u32_e64 s16, 0, v3
	s_cselect_b32 s20, -1, 0
	v_and_b32_e32 v3, 16, v112
	s_and_b32 s20, vcc_lo, s20
	s_and_b32 s20, s16, s20
	s_and_saveexec_b32 s16, s20
	s_cbranch_execz .LBB6_241
; %bb.240:                              ;   in Loop: Header=BB6_197 Depth=2
	v_mov_b32_e32 v3, 1
	s_waitcnt vmcnt(0)
	s_waitcnt_vscnt null, 0x0
	buffer_gl1_inv
	buffer_gl0_inv
.LBB6_241:                              ;   in Loop: Header=BB6_197 Depth=2
	s_or_b32 exec_lo, exec_lo, s16
	s_andn2_saveexec_b32 s16, s19
	s_cbranch_execz .LBB6_261
	s_branch .LBB6_243
.LBB6_242:                              ;   in Loop: Header=BB6_197 Depth=2
	s_andn2_saveexec_b32 s16, s19
	s_cbranch_execz .LBB6_261
.LBB6_243:                              ;   in Loop: Header=BB6_197 Depth=2
	s_and_saveexec_b32 s19, s46
	s_xor_b32 s19, exec_lo, s19
	s_cbranch_execz .LBB6_258
; %bb.244:                              ;   in Loop: Header=BB6_197 Depth=2
	s_and_saveexec_b32 s20, s11
	s_cbranch_execz .LBB6_257
; %bb.245:                              ;   in Loop: Header=BB6_197 Depth=2
	s_mov_b32 s22, exec_lo
	s_mov_b32 s21, exec_lo
	v_mbcnt_lo_u32_b32 v3, s22, 0
	;;#ASMSTART
	s_waitcnt lgkmcnt(0) vmcnt(0)
	;;#ASMEND
	v_cmpx_eq_u32_e32 0, v3
	s_cbranch_execz .LBB6_247
; %bb.246:                              ;   in Loop: Header=BB6_197 Depth=2
	s_bcnt1_i32_b32 s22, s22
	v_mov_b32_e32 v10, v2
	v_mov_b32_e32 v9, s22
	s_waitcnt vmcnt(0) lgkmcnt(0)
	s_waitcnt_vscnt null, 0x0
	ds_add_u64 v0, v[9:10]
	s_trap 2
.LBB6_247:                              ;   in Loop: Header=BB6_197 Depth=2
	s_or_b32 exec_lo, exec_lo, s21
	s_trap 2
	ds_read_b64 v[9:10], v0
	s_waitcnt vmcnt(0) lgkmcnt(0)
	buffer_gl0_inv
	v_add_co_u32 v50, vcc_lo, v50, v115
	v_add_co_ci_u32_e64 v51, null, 0, v51, vcc_lo
	s_mov_b32 s21, exec_lo
	v_cmpx_lt_u64_e64 v[9:10], v[50:51]
	s_cbranch_execz .LBB6_256
; %bb.248:                              ;   in Loop: Header=BB6_197 Depth=2
	s_mov_b32 s22, 0
	s_mov_b32 s25, 0
                                        ; implicit-def: $sgpr23
                                        ; implicit-def: $sgpr24
	s_inst_prefetch 0x1
	s_branch .LBB6_250
	.p2align	6
.LBB6_249:                              ;   in Loop: Header=BB6_250 Depth=3
	s_or_b32 exec_lo, exec_lo, s27
	s_and_b32 s26, exec_lo, s28
	s_or_b32 s22, s26, s22
	s_andn2_b32 s23, s23, exec_lo
	s_and_b32 s26, s24, exec_lo
	s_or_b32 s23, s23, s26
	s_andn2_b32 exec_lo, exec_lo, s22
	s_cbranch_execz .LBB6_254
.LBB6_250:                              ;   Parent Loop BB6_47 Depth=1
                                        ;     Parent Loop BB6_197 Depth=2
                                        ; =>    This Inner Loop Header: Depth=3
	s_add_i32 s25, s25, 1
	s_cmpk_lg_i32 s25, 0x2710
	s_cselect_b32 s26, -1, 0
	s_and_b32 vcc_lo, exec_lo, s26
	s_cbranch_vccz .LBB6_252
; %bb.251:                              ;   in Loop: Header=BB6_250 Depth=3
	s_mov_b32 s28, -1
	s_or_b32 s24, s24, exec_lo
	s_and_saveexec_b32 s27, s26
	s_cbranch_execz .LBB6_249
	s_branch .LBB6_253
	.p2align	6
.LBB6_252:                              ;   in Loop: Header=BB6_250 Depth=3
	s_trap 2
	ds_read_b64 v[9:10], v0
	s_andn2_b32 s26, s26, exec_lo
	s_mov_b32 s25, 0
	s_waitcnt lgkmcnt(0)
	s_waitcnt_vscnt null, 0x0
	flat_load_dword v3, v[9:10] glc dlc
	s_waitcnt vmcnt(0) lgkmcnt(0)
	buffer_gl1_inv
	buffer_gl0_inv
	v_cmp_eq_u32_e32 vcc_lo, 0, v3
	s_and_b32 s27, vcc_lo, exec_lo
	s_or_b32 s26, s26, s27
	s_mov_b32 s28, -1
	s_or_b32 s24, s24, exec_lo
	s_and_saveexec_b32 s27, s26
	s_cbranch_execz .LBB6_249
.LBB6_253:                              ;   in Loop: Header=BB6_250 Depth=3
	s_sleep 1
	s_trap 2
	ds_read_b64 v[9:10], v0
	s_waitcnt lgkmcnt(0)
	buffer_gl0_inv
	s_andn2_b32 s24, s24, exec_lo
	v_cmp_ge_u64_e32 vcc_lo, v[9:10], v[50:51]
	s_orn2_b32 s28, vcc_lo, exec_lo
	s_branch .LBB6_249
.LBB6_254:                              ;   in Loop: Header=BB6_197 Depth=2
	s_inst_prefetch 0x2
	s_or_b32 exec_lo, exec_lo, s22
	s_and_saveexec_b32 s22, s23
	s_xor_b32 s22, exec_lo, s22
	s_cbranch_execz .LBB6_256
; %bb.255:                              ;   in Loop: Header=BB6_197 Depth=2
	ds_write_b32 v0, v119
	s_trap 2
.LBB6_256:                              ;   in Loop: Header=BB6_197 Depth=2
	s_or_b32 exec_lo, exec_lo, s21
	;;#ASMSTART
	s_wakeup
	;;#ASMEND
.LBB6_257:                              ;   in Loop: Header=BB6_197 Depth=2
	s_or_b32 exec_lo, exec_lo, s20
.LBB6_258:                              ;   in Loop: Header=BB6_197 Depth=2
	s_andn2_saveexec_b32 s19, s19
	s_cbranch_execz .LBB6_260
; %bb.259:                              ;   in Loop: Header=BB6_197 Depth=2
	;;#ASMSTART
	s_waitcnt lgkmcnt(0) vmcnt(0)
	;;#ASMEND
	s_barrier
.LBB6_260:                              ;   in Loop: Header=BB6_197 Depth=2
	s_or_b32 exec_lo, exec_lo, s19
	v_and_b32_e32 v3, 16, v112
.LBB6_261:                              ;   in Loop: Header=BB6_197 Depth=2
	s_or_b32 exec_lo, exec_lo, s16
	s_mov_b32 s16, exec_lo
	v_cmpx_ne_u32_e32 0, v3
	s_cbranch_execz .LBB6_196
; %bb.262:                              ;   in Loop: Header=BB6_197 Depth=2
	s_and_saveexec_b32 s19, s10
	s_cbranch_execz .LBB6_195
; %bb.263:                              ;   in Loop: Header=BB6_197 Depth=2
	s_waitcnt vmcnt(0) lgkmcnt(0)
	s_waitcnt_vscnt null, 0x0
	flat_store_dword v[48:49], v119
	s_branch .LBB6_195
.LBB6_264:                              ;   in Loop: Header=BB6_47 Depth=1
	s_or_b32 exec_lo, exec_lo, s18
.LBB6_265:                              ;   in Loop: Header=BB6_47 Depth=1
	s_or_b32 exec_lo, exec_lo, s17
	s_andn2_b32 vcc_lo, exec_lo, s61
	s_cbranch_vccnz .LBB6_488
; %bb.266:                              ;   in Loop: Header=BB6_47 Depth=1
	s_mov_b32 s41, 2
	s_branch .LBB6_269
.LBB6_267:                              ;   in Loop: Header=BB6_269 Depth=2
	s_or_b32 exec_lo, exec_lo, s18
.LBB6_268:                              ;   in Loop: Header=BB6_269 Depth=2
	s_or_b32 exec_lo, exec_lo, s17
	s_add_i32 s41, s41, 1
	s_cmp_eq_u32 s41, s42
	s_cbranch_scc1 .LBB6_488
.LBB6_269:                              ;   Parent Loop BB6_47 Depth=1
                                        ; =>  This Loop Header: Depth=2
                                        ;       Child Loop BB6_272 Depth 3
                                        ;         Child Loop BB6_280 Depth 4
                                        ;         Child Loop BB6_308 Depth 4
                                        ;         Child Loop BB6_327 Depth 4
                                        ;         Child Loop BB6_353 Depth 4
                                        ;         Child Loop BB6_358 Depth 4
                                        ;         Child Loop BB6_364 Depth 4
                                        ;         Child Loop BB6_369 Depth 4
                                        ;         Child Loop BB6_378 Depth 4
                                        ;         Child Loop BB6_397 Depth 4
                                        ;       Child Loop BB6_416 Depth 3
                                        ;         Child Loop BB6_422 Depth 4
                                        ;         Child Loop BB6_450 Depth 4
	;; [unrolled: 1-line block ×3, first 2 shown]
	s_sub_i32 s16, s57, s41
	v_mov_b32_e32 v103, 0
	s_cmp_ge_i32 s16, s42
	s_mov_b32 s77, 0
	s_cselect_b32 s17, s42, 0
	s_sub_i32 s16, s16, s17
	s_ashr_i32 s17, s16, 31
	v_mul_lo_u32 v1, v67, s16
	v_mad_u64_u32 v[82:83], null, v66, s16, 0
	v_mul_lo_u32 v3, v66, s17
	v_add3_u32 v83, v83, v3, v1
	s_clause 0x1
	buffer_load_dword v3, off, s[0:3], s33 offset:188
	buffer_load_dword v4, off, s[0:3], s33 offset:192
	s_waitcnt vmcnt(1)
	v_sub_co_u32 v8, vcc_lo, v3, v82
	s_waitcnt vmcnt(0)
	v_sub_co_ci_u32_e64 v9, null, v4, v83, vcc_lo
	v_cmp_lt_i64_e32 vcc_lo, v[66:67], v[8:9]
	v_cndmask_b32_e32 v1, v8, v66, vcc_lo
	v_max_i32_e32 v102, 0, v1
	v_cmp_lt_i32_e32 vcc_lo, 0, v1
	v_add_nc_u32_e32 v3, 31, v102
	s_and_b32 s16, s72, vcc_lo
	v_lshrrev_b32_e32 v3, 1, v3
	v_and_b32_e32 v4, 0x3ffffff0, v3
	v_mov_b32_e32 v3, 0
	v_max_i32_e32 v80, s60, v4
	s_and_saveexec_b32 s76, s16
	s_cbranch_execz .LBB6_413
; %bb.270:                              ;   in Loop: Header=BB6_269 Depth=2
	v_mov_b32_e32 v103, 0
	s_mov_b32 s79, 1
	s_mov_b32 s78, -1
	s_branch .LBB6_272
.LBB6_271:                              ;   in Loop: Header=BB6_272 Depth=3
	s_or_b32 exec_lo, exec_lo, s16
	v_add_nc_u32_e32 v103, v80, v103
	s_xor_b32 s16, s78, -1
	v_mov_b32_e32 v3, s79
	s_mov_b32 s78, 0
	s_mov_b32 s79, 2
	v_cmp_ge_i32_e32 vcc_lo, v103, v102
	s_or_b32 s16, s16, vcc_lo
	s_and_b32 s16, exec_lo, s16
	s_or_b32 s77, s16, s77
	s_andn2_b32 exec_lo, exec_lo, s77
	s_cbranch_execz .LBB6_412
.LBB6_272:                              ;   Parent Loop BB6_47 Depth=1
                                        ;     Parent Loop BB6_269 Depth=2
                                        ; =>    This Loop Header: Depth=3
                                        ;         Child Loop BB6_280 Depth 4
                                        ;         Child Loop BB6_308 Depth 4
	;; [unrolled: 1-line block ×9, first 2 shown]
	s_and_saveexec_b32 s16, s4
	s_cbranch_execz .LBB6_274
; %bb.273:                              ;   in Loop: Header=BB6_272 Depth=3
	s_trap 2
	ds_read_b64 v[8:9], v0
	v_ashrrev_i32_e32 v4, 31, v103
	s_waitcnt lgkmcnt(0)
	v_add_co_u32 v1, vcc_lo, v8, v72
	v_add_co_ci_u32_e64 v3, null, v9, v73, vcc_lo
	v_add_co_u32 v1, vcc_lo, v1, v82
	v_add_co_ci_u32_e64 v3, null, v3, v83, vcc_lo
	;; [unrolled: 2-line block ×3, first 2 shown]
	v_mov_b32_e32 v3, v2
	ds_write_b64 v0, v[8:9]
	ds_write_b64 v0, v[2:3]
.LBB6_274:                              ;   in Loop: Header=BB6_272 Depth=3
	s_or_b32 exec_lo, exec_lo, s16
	v_sub_nc_u32_e32 v1, v102, v103
	v_and_b32_e32 v3, 12, v112
	s_mov_b32 s17, exec_lo
	v_min_i32_e32 v80, v80, v1
	v_cmpx_ne_u32_e32 0, v3
	s_cbranch_execz .LBB6_300
; %bb.275:                              ;   in Loop: Header=BB6_272 Depth=3
	v_and_b32_e32 v3, 8, v112
	s_mov_b32 s18, exec_lo
	s_waitcnt vmcnt(0) lgkmcnt(1)
	v_add_co_u32 v10, vcc_lo, v52, v3
	v_add_co_ci_u32_e64 v11, null, 0, v53, vcc_lo
	v_add_co_u32 v8, vcc_lo, v68, 2
	v_add_co_ci_u32_e64 v9, null, 0, v69, vcc_lo
	v_cmpx_lt_u64_e64 v[10:11], v[8:9]
	s_cbranch_execz .LBB6_287
; %bb.276:                              ;   in Loop: Header=BB6_272 Depth=3
	v_and_b32_e32 v1, 64, v112
	s_mov_b32 s19, 0
	s_mov_b32 s23, 0
                                        ; implicit-def: $sgpr20
                                        ; implicit-def: $sgpr21
                                        ; implicit-def: $sgpr22
	v_cmp_eq_u32_e32 vcc_lo, 0, v1
	s_branch .LBB6_280
.LBB6_277:                              ;   in Loop: Header=BB6_280 Depth=4
	s_waitcnt vmcnt(0) lgkmcnt(0)
	v_add_co_u32 v11, s16, v52, v3
	v_add_co_ci_u32_e64 v12, null, 0, v53, s16
	s_or_b32 s26, s26, exec_lo
	v_cmp_ge_u64_e64 s16, v[11:12], v[8:9]
	s_orn2_b32 s25, s16, exec_lo
.LBB6_278:                              ;   in Loop: Header=BB6_280 Depth=4
	s_or_b32 exec_lo, exec_lo, s28
	s_andn2_b32 s16, s22, exec_lo
	s_and_b32 s22, s26, exec_lo
	s_andn2_b32 s21, s21, exec_lo
	s_and_b32 s25, s25, exec_lo
	s_or_b32 s22, s16, s22
	s_or_b32 s21, s21, s25
.LBB6_279:                              ;   in Loop: Header=BB6_280 Depth=4
	s_or_b32 exec_lo, exec_lo, s24
	s_and_b32 s16, exec_lo, s21
	s_or_b32 s19, s16, s19
	s_andn2_b32 s16, s20, exec_lo
	s_and_b32 s20, s22, exec_lo
	s_or_b32 s20, s16, s20
	s_andn2_b32 exec_lo, exec_lo, s19
	s_cbranch_execz .LBB6_284
.LBB6_280:                              ;   Parent Loop BB6_47 Depth=1
                                        ;     Parent Loop BB6_269 Depth=2
                                        ;       Parent Loop BB6_272 Depth=3
                                        ; =>      This Inner Loop Header: Depth=4
	s_sleep 1
	s_waitcnt vmcnt(0) lgkmcnt(0)
	flat_load_dwordx2 v[52:53], v[36:37] glc dlc
	s_or_b32 s22, s22, exec_lo
	s_or_b32 s21, s21, exec_lo
                                        ; implicit-def: $vgpr10
	s_and_saveexec_b32 s24, vcc_lo
	s_cbranch_execz .LBB6_279
; %bb.281:                              ;   in Loop: Header=BB6_280 Depth=4
	s_cmpk_lt_i32 s23, 0x270f
	s_mov_b32 s25, -1
	s_cselect_b32 s27, -1, 0
	s_cmpk_gt_i32 s23, 0x270e
	s_cbranch_scc0 .LBB6_283
; %bb.282:                              ;   in Loop: Header=BB6_280 Depth=4
	s_trap 2
	ds_read_b64 v[10:11], v0
	s_andn2_b32 s23, s27, exec_lo
	s_mov_b32 s26, 0
	s_waitcnt vmcnt(0) lgkmcnt(0)
	s_waitcnt_vscnt null, 0x0
	flat_load_dword v10, v[10:11] glc dlc
	s_waitcnt vmcnt(0) lgkmcnt(0)
	buffer_gl1_inv
	buffer_gl0_inv
	v_cmp_eq_u32_e64 s16, 0, v10
	s_and_b32 s16, s16, exec_lo
	s_or_b32 s27, s23, s16
	s_mov_b32 s23, 0
	s_and_saveexec_b32 s28, s27
	s_cbranch_execz .LBB6_278
	s_branch .LBB6_277
.LBB6_283:                              ;   in Loop: Header=BB6_280 Depth=4
	s_add_i32 s23, s23, 1
	s_mov_b32 s26, -1
                                        ; implicit-def: $vgpr10
	s_and_saveexec_b32 s28, s27
	s_cbranch_execz .LBB6_278
	s_branch .LBB6_277
.LBB6_284:                              ;   in Loop: Header=BB6_272 Depth=3
	s_or_b32 exec_lo, exec_lo, s19
	s_xor_b32 s16, s20, -1
	s_and_saveexec_b32 s19, s16
	s_xor_b32 s16, exec_lo, s19
	s_cbranch_execz .LBB6_286
; %bb.285:                              ;   in Loop: Header=BB6_272 Depth=3
	v_or_b32_e32 v112, 64, v112
	s_waitcnt vmcnt(0) lgkmcnt(0)
	s_waitcnt_vscnt null, 0x0
	ds_write_b32 v0, v10
	s_trap 2
.LBB6_286:                              ;   in Loop: Header=BB6_272 Depth=3
	s_or_b32 exec_lo, exec_lo, s16
.LBB6_287:                              ;   in Loop: Header=BB6_272 Depth=3
	s_or_b32 exec_lo, exec_lo, s18
	v_and_b32_e32 v1, 0x108, v112
	s_mov_b32 s16, exec_lo
	;;#ASMSTART
	s_wakeup
	;;#ASMEND
                                        ; implicit-def: $vgpr10_vgpr11
	v_cmpx_ne_u32_e32 0x108, v1
	s_xor_b32 s16, exec_lo, s16
; %bb.288:                              ;   in Loop: Header=BB6_272 Depth=3
	v_and_b32_e32 v10, 7, v68
	v_mov_b32_e32 v11, v2
                                        ; implicit-def: $vgpr68_vgpr69
; %bb.289:                              ;   in Loop: Header=BB6_272 Depth=3
	s_andn2_saveexec_b32 s16, s16
	s_cbranch_execz .LBB6_291
; %bb.290:                              ;   in Loop: Header=BB6_272 Depth=3
	v_and_b32_e32 v10, 7, v68
	v_ashrrev_i32_e32 v81, 31, v80
	v_mov_b32_e32 v11, v2
	v_mad_u64_u32 v[12:13], null, v10, 24, v[6:7]
	flat_store_dwordx2 v[12:13], v[80:81] offset:8
.LBB6_291:                              ;   in Loop: Header=BB6_272 Depth=3
	s_or_b32 exec_lo, exec_lo, s16
	v_and_b32_e32 v1, 0x100, v112
	s_mov_b32 s16, -1
	s_mov_b32 s18, exec_lo
                                        ; implicit-def: $vgpr12_vgpr13
	v_cmpx_ne_u32_e32 0, v1
	s_cbranch_execz .LBB6_295
; %bb.292:                              ;   in Loop: Header=BB6_272 Depth=3
	v_mad_u64_u32 v[14:15], null, v10, 24, v[6:7]
	s_mov_b32 s19, exec_lo
	v_mov_b32_e32 v12, v15
	v_mad_u64_u32 v[12:13], null, v11, 24, v[12:13]
	v_mov_b32_e32 v15, v12
                                        ; implicit-def: $vgpr12_vgpr13
	flat_load_dword v1, v[14:15]
	s_waitcnt vmcnt(0) lgkmcnt(0)
	v_cmp_ne_u32_e32 vcc_lo, 1, v1
	v_cmpx_eq_u32_e32 1, v1
	s_cbranch_execz .LBB6_294
; %bb.293:                              ;   in Loop: Header=BB6_272 Depth=3
	flat_load_dword v12, v[14:15] offset:4 glc dlc
	s_waitcnt vmcnt(0) lgkmcnt(0)
	v_ashrrev_i32_e32 v13, 31, v12
.LBB6_294:                              ;   in Loop: Header=BB6_272 Depth=3
	s_or_b32 exec_lo, exec_lo, s19
	s_orn2_b32 s16, vcc_lo, exec_lo
.LBB6_295:                              ;   in Loop: Header=BB6_272 Depth=3
	s_or_b32 exec_lo, exec_lo, s18
	s_and_saveexec_b32 s18, s16
; %bb.296:                              ;   in Loop: Header=BB6_272 Depth=3
	v_mul_lo_u32 v1, v11, v113
	v_mul_lo_u32 v4, v10, v114
	v_mad_u64_u32 v[12:13], null, v10, v113, 0
	v_add3_u32 v13, v13, v4, v1
; %bb.297:                              ;   in Loop: Header=BB6_272 Depth=3
	s_or_b32 exec_lo, exec_lo, s18
	v_cmp_eq_u32_e32 vcc_lo, 0, v3
	v_and_b32_e32 v3, 0x2000, v112
	s_mov_b32 s16, exec_lo
	v_cndmask_b32_e32 v1, 0xc8, v40, vcc_lo
	v_add_co_u32 v10, vcc_lo, v38, v12
	v_add_co_ci_u32_e64 v11, null, v39, v13, vcc_lo
	v_add_nc_u32_e32 v1, v0, v1
	ds_write_b64 v1, v[10:11] offset:584
	v_cmpx_ne_u32_e32 0, v3
	s_cbranch_execz .LBB6_299
; %bb.298:                              ;   in Loop: Header=BB6_272 Depth=3
	ds_read_b64 v[10:11], v0 offset:872
	s_waitcnt lgkmcnt(0)
	v_add_co_u32 v10, vcc_lo, v10, 1
	v_add_co_ci_u32_e64 v11, null, 0, v11, vcc_lo
	ds_write_b64 v0, v[10:11] offset:872
.LBB6_299:                              ;   in Loop: Header=BB6_272 Depth=3
	s_or_b32 exec_lo, exec_lo, s16
	v_mov_b32_e32 v69, v9
	v_mov_b32_e32 v68, v8
.LBB6_300:                              ;   in Loop: Header=BB6_272 Depth=3
	s_or_b32 exec_lo, exec_lo, s17
	s_and_saveexec_b32 s16, s6
	s_cbranch_execz .LBB6_319
; %bb.301:                              ;   in Loop: Header=BB6_272 Depth=3
	s_and_saveexec_b32 s17, s46
	s_xor_b32 s17, exec_lo, s17
	s_cbranch_execz .LBB6_316
; %bb.302:                              ;   in Loop: Header=BB6_272 Depth=3
	s_and_saveexec_b32 s18, s11
	s_cbranch_execz .LBB6_315
; %bb.303:                              ;   in Loop: Header=BB6_272 Depth=3
	s_mov_b32 s20, exec_lo
	s_mov_b32 s19, exec_lo
	v_mbcnt_lo_u32_b32 v1, s20, 0
	s_waitcnt vmcnt(0) lgkmcnt(0)
	s_waitcnt_vscnt null, 0x0
	buffer_gl1_inv
	buffer_gl0_inv
	v_cmpx_eq_u32_e32 0, v1
	s_cbranch_execz .LBB6_305
; %bb.304:                              ;   in Loop: Header=BB6_272 Depth=3
	s_bcnt1_i32_b32 s20, s20
	v_mov_b32_e32 v9, v2
	v_mov_b32_e32 v8, s20
	ds_add_u64 v0, v[8:9]
	s_trap 2
.LBB6_305:                              ;   in Loop: Header=BB6_272 Depth=3
	s_or_b32 exec_lo, exec_lo, s19
	s_trap 2
	ds_read_b64 v[8:9], v0
	s_waitcnt lgkmcnt(0)
	buffer_gl0_inv
	v_add_co_u32 v50, vcc_lo, v50, v115
	v_add_co_ci_u32_e64 v51, null, 0, v51, vcc_lo
	s_mov_b32 s19, exec_lo
	v_cmpx_lt_u64_e64 v[8:9], v[50:51]
	s_cbranch_execz .LBB6_314
; %bb.306:                              ;   in Loop: Header=BB6_272 Depth=3
	s_mov_b32 s20, 0
	s_mov_b32 s23, 0
                                        ; implicit-def: $sgpr21
                                        ; implicit-def: $sgpr22
	s_inst_prefetch 0x1
	s_branch .LBB6_308
	.p2align	6
.LBB6_307:                              ;   in Loop: Header=BB6_308 Depth=4
	s_or_b32 exec_lo, exec_lo, s25
	s_and_b32 s24, exec_lo, s26
	s_or_b32 s20, s24, s20
	s_andn2_b32 s21, s21, exec_lo
	s_and_b32 s24, s22, exec_lo
	s_or_b32 s21, s21, s24
	s_andn2_b32 exec_lo, exec_lo, s20
	s_cbranch_execz .LBB6_312
.LBB6_308:                              ;   Parent Loop BB6_47 Depth=1
                                        ;     Parent Loop BB6_269 Depth=2
                                        ;       Parent Loop BB6_272 Depth=3
                                        ; =>      This Inner Loop Header: Depth=4
	s_add_i32 s23, s23, 1
	s_cmpk_lg_i32 s23, 0x2710
	s_cselect_b32 s24, -1, 0
	s_and_b32 vcc_lo, exec_lo, s24
	s_cbranch_vccz .LBB6_310
; %bb.309:                              ;   in Loop: Header=BB6_308 Depth=4
	s_mov_b32 s26, -1
	s_or_b32 s22, s22, exec_lo
	s_and_saveexec_b32 s25, s24
	s_cbranch_execz .LBB6_307
	s_branch .LBB6_311
	.p2align	6
.LBB6_310:                              ;   in Loop: Header=BB6_308 Depth=4
	s_trap 2
	ds_read_b64 v[8:9], v0
	s_andn2_b32 s24, s24, exec_lo
	s_mov_b32 s23, 0
	s_waitcnt lgkmcnt(0)
	flat_load_dword v1, v[8:9] glc dlc
	s_waitcnt vmcnt(0) lgkmcnt(0)
	buffer_gl1_inv
	buffer_gl0_inv
	v_cmp_eq_u32_e32 vcc_lo, 0, v1
	s_and_b32 s25, vcc_lo, exec_lo
	s_or_b32 s24, s24, s25
	s_mov_b32 s26, -1
	s_or_b32 s22, s22, exec_lo
	s_and_saveexec_b32 s25, s24
	s_cbranch_execz .LBB6_307
.LBB6_311:                              ;   in Loop: Header=BB6_308 Depth=4
	s_sleep 1
	s_trap 2
	ds_read_b64 v[8:9], v0
	s_waitcnt lgkmcnt(0)
	buffer_gl0_inv
	s_andn2_b32 s22, s22, exec_lo
	v_cmp_ge_u64_e32 vcc_lo, v[8:9], v[50:51]
	s_orn2_b32 s26, vcc_lo, exec_lo
	s_branch .LBB6_307
.LBB6_312:                              ;   in Loop: Header=BB6_272 Depth=3
	s_inst_prefetch 0x2
	s_or_b32 exec_lo, exec_lo, s20
	s_and_saveexec_b32 s20, s21
	s_xor_b32 s20, exec_lo, s20
	s_cbranch_execz .LBB6_314
; %bb.313:                              ;   in Loop: Header=BB6_272 Depth=3
	ds_write_b32 v0, v119
	s_trap 2
.LBB6_314:                              ;   in Loop: Header=BB6_272 Depth=3
	s_or_b32 exec_lo, exec_lo, s19
	;;#ASMSTART
	s_wakeup
	;;#ASMEND
.LBB6_315:                              ;   in Loop: Header=BB6_272 Depth=3
	s_or_b32 exec_lo, exec_lo, s18
.LBB6_316:                              ;   in Loop: Header=BB6_272 Depth=3
	s_andn2_saveexec_b32 s17, s17
	s_cbranch_execz .LBB6_318
; %bb.317:                              ;   in Loop: Header=BB6_272 Depth=3
	s_waitcnt vmcnt(0) lgkmcnt(0)
	s_waitcnt_vscnt null, 0x0
	buffer_gl1_inv
	buffer_gl0_inv
	s_barrier
.LBB6_318:                              ;   in Loop: Header=BB6_272 Depth=3
	s_or_b32 exec_lo, exec_lo, s17
.LBB6_319:                              ;   in Loop: Header=BB6_272 Depth=3
	s_or_b32 exec_lo, exec_lo, s16
	s_trap 2
	ds_read_b32 v3, v0
	v_and_b32_e32 v1, 0x4000, v112
	s_xor_b32 s16, s5, -1
	v_cmp_ne_u32_e32 vcc_lo, 0, v1
	s_and_b32 s17, s16, vcc_lo
	s_and_saveexec_b32 s16, s17
	s_cbranch_execz .LBB6_338
; %bb.320:                              ;   in Loop: Header=BB6_272 Depth=3
	s_and_saveexec_b32 s17, s46
	s_xor_b32 s17, exec_lo, s17
	s_cbranch_execz .LBB6_335
; %bb.321:                              ;   in Loop: Header=BB6_272 Depth=3
	s_and_saveexec_b32 s18, s11
	s_cbranch_execz .LBB6_334
; %bb.322:                              ;   in Loop: Header=BB6_272 Depth=3
	s_mov_b32 s20, exec_lo
	s_mov_b32 s19, exec_lo
	v_mbcnt_lo_u32_b32 v1, s20, 0
	s_waitcnt vmcnt(0) lgkmcnt(0)
	s_waitcnt_vscnt null, 0x0
	buffer_gl1_inv
	buffer_gl0_inv
	v_cmpx_eq_u32_e32 0, v1
	s_cbranch_execz .LBB6_324
; %bb.323:                              ;   in Loop: Header=BB6_272 Depth=3
	s_bcnt1_i32_b32 s20, s20
	v_mov_b32_e32 v9, v2
	v_mov_b32_e32 v8, s20
	ds_add_u64 v0, v[8:9]
	s_trap 2
.LBB6_324:                              ;   in Loop: Header=BB6_272 Depth=3
	s_or_b32 exec_lo, exec_lo, s19
	s_trap 2
	ds_read_b64 v[8:9], v0
	s_waitcnt lgkmcnt(0)
	buffer_gl0_inv
	v_add_co_u32 v50, vcc_lo, v50, v115
	v_add_co_ci_u32_e64 v51, null, 0, v51, vcc_lo
	s_mov_b32 s19, exec_lo
	v_cmpx_lt_u64_e64 v[8:9], v[50:51]
	s_cbranch_execz .LBB6_333
; %bb.325:                              ;   in Loop: Header=BB6_272 Depth=3
	s_mov_b32 s20, 0
	s_mov_b32 s23, 0
                                        ; implicit-def: $sgpr21
                                        ; implicit-def: $sgpr22
	s_inst_prefetch 0x1
	s_branch .LBB6_327
	.p2align	6
.LBB6_326:                              ;   in Loop: Header=BB6_327 Depth=4
	s_or_b32 exec_lo, exec_lo, s25
	s_and_b32 s24, exec_lo, s26
	s_or_b32 s20, s24, s20
	s_andn2_b32 s21, s21, exec_lo
	s_and_b32 s24, s22, exec_lo
	s_or_b32 s21, s21, s24
	s_andn2_b32 exec_lo, exec_lo, s20
	s_cbranch_execz .LBB6_331
.LBB6_327:                              ;   Parent Loop BB6_47 Depth=1
                                        ;     Parent Loop BB6_269 Depth=2
                                        ;       Parent Loop BB6_272 Depth=3
                                        ; =>      This Inner Loop Header: Depth=4
	s_add_i32 s23, s23, 1
	s_cmpk_lg_i32 s23, 0x2710
	s_cselect_b32 s24, -1, 0
	s_and_b32 vcc_lo, exec_lo, s24
	s_cbranch_vccz .LBB6_329
; %bb.328:                              ;   in Loop: Header=BB6_327 Depth=4
	s_mov_b32 s26, -1
	s_or_b32 s22, s22, exec_lo
	s_and_saveexec_b32 s25, s24
	s_cbranch_execz .LBB6_326
	s_branch .LBB6_330
	.p2align	6
.LBB6_329:                              ;   in Loop: Header=BB6_327 Depth=4
	s_trap 2
	ds_read_b64 v[8:9], v0
	s_andn2_b32 s24, s24, exec_lo
	s_mov_b32 s23, 0
	s_waitcnt lgkmcnt(0)
	flat_load_dword v1, v[8:9] glc dlc
	s_waitcnt vmcnt(0) lgkmcnt(0)
	buffer_gl1_inv
	buffer_gl0_inv
	v_cmp_eq_u32_e32 vcc_lo, 0, v1
	s_and_b32 s25, vcc_lo, exec_lo
	s_or_b32 s24, s24, s25
	s_mov_b32 s26, -1
	s_or_b32 s22, s22, exec_lo
	s_and_saveexec_b32 s25, s24
	s_cbranch_execz .LBB6_326
.LBB6_330:                              ;   in Loop: Header=BB6_327 Depth=4
	s_sleep 1
	s_trap 2
	ds_read_b64 v[8:9], v0
	s_waitcnt lgkmcnt(0)
	buffer_gl0_inv
	s_andn2_b32 s22, s22, exec_lo
	v_cmp_ge_u64_e32 vcc_lo, v[8:9], v[50:51]
	s_orn2_b32 s26, vcc_lo, exec_lo
	s_branch .LBB6_326
.LBB6_331:                              ;   in Loop: Header=BB6_272 Depth=3
	s_inst_prefetch 0x2
	s_or_b32 exec_lo, exec_lo, s20
	s_and_saveexec_b32 s20, s21
	s_xor_b32 s20, exec_lo, s20
	s_cbranch_execz .LBB6_333
; %bb.332:                              ;   in Loop: Header=BB6_272 Depth=3
	ds_write_b32 v0, v119
	s_trap 2
.LBB6_333:                              ;   in Loop: Header=BB6_272 Depth=3
	s_or_b32 exec_lo, exec_lo, s19
	;;#ASMSTART
	s_wakeup
	;;#ASMEND
.LBB6_334:                              ;   in Loop: Header=BB6_272 Depth=3
	s_or_b32 exec_lo, exec_lo, s18
.LBB6_335:                              ;   in Loop: Header=BB6_272 Depth=3
	s_andn2_saveexec_b32 s17, s17
	s_cbranch_execz .LBB6_337
; %bb.336:                              ;   in Loop: Header=BB6_272 Depth=3
	s_waitcnt vmcnt(0) lgkmcnt(0)
	s_waitcnt_vscnt null, 0x0
	buffer_gl1_inv
	buffer_gl0_inv
	s_barrier
.LBB6_337:                              ;   in Loop: Header=BB6_272 Depth=3
	s_or_b32 exec_lo, exec_lo, s17
.LBB6_338:                              ;   in Loop: Header=BB6_272 Depth=3
	s_or_b32 exec_lo, exec_lo, s16
	s_trap 2
	ds_read_b64 v[84:85], v0
	s_waitcnt lgkmcnt(0)
	v_cmp_eq_u64_e32 vcc_lo, 0, v[84:85]
	s_cbranch_vccnz .LBB6_346
; %bb.339:                              ;   in Loop: Header=BB6_272 Depth=3
	s_trap 2
	ds_read_b64 v[86:87], v0
	s_waitcnt lgkmcnt(0)
	v_cmp_eq_u64_e32 vcc_lo, 0, v[86:87]
	s_cbranch_vccnz .LBB6_346
; %bb.340:                              ;   in Loop: Header=BB6_272 Depth=3
	s_trap 2
	ds_read_b64 v[8:9], v0
	s_mov_b32 s16, -1
	s_waitcnt lgkmcnt(0)
	v_readfirstlane_b32 s88, v8
	s_and_saveexec_b32 s17, s14
	s_cbranch_execz .LBB6_342
; %bb.341:                              ;   in Loop: Header=BB6_272 Depth=3
	ds_read_b32 v1, v0 offset:720
	s_waitcnt lgkmcnt(0)
	v_and_b32_e32 v1, 15, v1
	v_cmp_eq_u32_e32 vcc_lo, 0, v1
	s_orn2_b32 s16, vcc_lo, exec_lo
.LBB6_342:                              ;   in Loop: Header=BB6_272 Depth=3
	s_or_b32 exec_lo, exec_lo, s17
	s_and_saveexec_b32 s17, s13
	s_cbranch_execz .LBB6_344
; %bb.343:                              ;   in Loop: Header=BB6_272 Depth=3
	ds_read_b32 v1, v0 offset:784
	s_waitcnt lgkmcnt(0)
	v_and_b32_e32 v1, 15, v1
	v_cmp_eq_u32_e32 vcc_lo, 0, v1
	s_and_b32 s18, s16, vcc_lo
	s_andn2_b32 s16, s16, exec_lo
	s_and_b32 s18, s18, exec_lo
	s_or_b32 s16, s16, s18
.LBB6_344:                              ;   in Loop: Header=BB6_272 Depth=3
	s_or_b32 exec_lo, exec_lo, s17
	v_cmp_eq_u32_e32 vcc_lo, 0, v3
	s_xor_b32 s16, s16, -1
	v_mov_b32_e32 v20, 0
	v_cndmask_b32_e64 v1, 0, 1, s16
	v_mov_b32_e32 v22, v0
	v_cndmask_b32_e32 v3, 0, v80, vcc_lo
	s_mov_b32 s16, -1
	v_cmp_ne_u32_e32 vcc_lo, 0, v1
	v_mov_b32_e32 v21, v3
	s_cbranch_vccz .LBB6_351
; %bb.345:                              ;   in Loop: Header=BB6_272 Depth=3
	s_and_saveexec_b32 s89, s16
	s_cbranch_execnz .LBB6_362
	s_branch .LBB6_370
.LBB6_346:                              ;   in Loop: Header=BB6_272 Depth=3
	s_mov_b32 s16, 0
	s_and_saveexec_b32 s17, s6
	s_cbranch_execnz .LBB6_371
.LBB6_347:                              ;   in Loop: Header=BB6_272 Depth=3
	s_or_b32 exec_lo, exec_lo, s17
                                        ; implicit-def: $vgpr3
	s_and_saveexec_b32 s17, s15
	s_xor_b32 s17, exec_lo, s17
	s_cbranch_execz .LBB6_389
.LBB6_348:                              ;   in Loop: Header=BB6_272 Depth=3
	v_and_b32_e32 v1, 16, v112
	v_and_b32_e32 v3, 16, v112
	v_cmp_ne_u32_e32 vcc_lo, 0, v1
	s_and_b32 s18, vcc_lo, s16
	s_and_saveexec_b32 s16, s18
	s_cbranch_execz .LBB6_350
; %bb.349:                              ;   in Loop: Header=BB6_272 Depth=3
	v_mov_b32_e32 v3, 1
	s_waitcnt vmcnt(0) lgkmcnt(0)
	s_waitcnt_vscnt null, 0x0
	buffer_gl1_inv
	buffer_gl0_inv
.LBB6_350:                              ;   in Loop: Header=BB6_272 Depth=3
	s_or_b32 exec_lo, exec_lo, s16
	s_andn2_saveexec_b32 s16, s17
	s_cbranch_execz .LBB6_408
	s_branch .LBB6_390
.LBB6_351:                              ;   in Loop: Header=BB6_272 Depth=3
	v_ashrrev_i32_e32 v1, 31, v3
	s_mov_b32 s17, exec_lo
	v_lshrrev_b32_e32 v1, 21, v1
	v_add_nc_u32_e32 v1, v3, v1
	v_ashrrev_i32_e32 v74, 11, v1
	v_sub_nc_u32_e32 v81, v74, v117
	v_cmpx_lt_i32_e32 0, v81
	s_cbranch_execz .LBB6_355
; %bb.352:                              ;   in Loop: Header=BB6_272 Depth=3
	s_trap 2
	buffer_load_dword v1, off, s[0:3], s33 offset:196 ; 4-byte Folded Reload
	ds_read_b64 v[8:9], v0
	s_and_b32 s19, s88, 0xff
	s_mov_b32 s18, 0
	s_mul_i32 s19, s19, 0x1010101
	s_waitcnt vmcnt(0)
	v_add_co_u32 v96, vcc_lo, v84, v1
	v_add_co_ci_u32_e64 v97, null, 0, v85, vcc_lo
	v_add_co_u32 v98, vcc_lo, v86, v1
	v_add_co_ci_u32_e64 v99, null, 0, v87, vcc_lo
	s_waitcnt lgkmcnt(0)
	v_add_co_u32 v100, vcc_lo, v8, v1
	v_add_co_ci_u32_e64 v101, null, 0, v9, vcc_lo
.LBB6_353:                              ;   Parent Loop BB6_47 Depth=1
                                        ;     Parent Loop BB6_269 Depth=2
                                        ;       Parent Loop BB6_272 Depth=3
                                        ; =>      This Inner Loop Header: Depth=4
	global_load_dwordx4 v[8:11], v[96:97], off slc
	global_load_dwordx4 v[20:23], v[100:101], off slc
	global_load_dwordx4 v[12:15], v[96:97], off offset:512 slc
	v_sub_nc_u32_e32 v81, v81, v115
	s_waitcnt vmcnt(2)
	v_xor_b32_e32 v1, s19, v8
	s_waitcnt vmcnt(1)
	v_xor3_b32 v4, s19, -1, v20
	v_xor_b32_e32 v5, s19, v9
	v_xnor_b32_e32 v24, s19, v21
	v_xor_b32_e32 v25, s19, v10
	v_and_b32_e32 v16, 0xff00ff, v1
	v_and_b32_e32 v17, 0xff00ff, v4
	;; [unrolled: 1-line block ×4, first 2 shown]
	v_xnor_b32_e32 v26, s19, v22
	v_xor_b32_e32 v27, s19, v11
	v_add3_u32 v33, v16, v17, 0x1010101
	v_xnor_b32_e32 v28, s19, v23
	v_add3_u32 v34, v18, v19, 0x1010101
	global_load_dwordx4 v[16:19], v[100:101], off offset:512 slc
	v_and_b32_e32 v29, 0xff00ff, v25
	v_and_b32_e32 v30, 0xff00ff, v26
	;; [unrolled: 1-line block ×4, first 2 shown]
	v_lshrrev_b32_e32 v5, 8, v5
	v_lshrrev_b32_e32 v24, 8, v24
	;; [unrolled: 1-line block ×4, first 2 shown]
	v_add3_u32 v29, v29, v30, 0x1010101
	v_add3_u32 v30, v31, v32, 0x1010101
	v_and_b32_e32 v5, 0xff00ff, v5
	v_and_b32_e32 v24, 0xff00ff, v24
	v_lshrrev_b32_e32 v32, 8, v34
	v_and_b32_e32 v1, 0xff00ff, v1
	v_and_b32_e32 v4, 0xff00ff, v4
	v_lshrrev_b32_e32 v25, 8, v25
	v_lshrrev_b32_e32 v26, 8, v26
	;; [unrolled: 1-line block ×3, first 2 shown]
	v_add3_u32 v5, v5, v24, 0x1010101
	v_and_b32_e32 v32, 0x10001, v32
	v_add3_u32 v1, v1, v4, 0x1010101
	v_and_b32_e32 v25, 0xff00ff, v25
	v_and_b32_e32 v26, 0xff00ff, v26
	v_lshrrev_b32_e32 v27, 8, v27
	v_lshrrev_b32_e32 v28, 8, v28
	v_and_b32_e32 v31, 0x10001, v31
	v_lshrrev_b32_e32 v29, 8, v29
	v_and_or_b32 v5, 0x1000100, v5, v32
	v_add3_u32 v25, v25, v26, 0x1010101
	v_and_b32_e32 v27, 0xff00ff, v27
	v_and_b32_e32 v28, 0xff00ff, v28
	v_and_or_b32 v1, 0x1000100, v1, v31
	v_lshrrev_b32_e32 v30, 8, v30
	v_and_b32_e32 v29, 0x10001, v29
	v_mul_lo_u32 v5, 0xff, v5
	v_add3_u32 v27, v27, v28, 0x1010101
	v_mul_lo_u32 v1, 0xff, v1
	v_and_b32_e32 v30, 0x10001, v30
	v_and_or_b32 v25, 0x1000100, v25, v29
	s_waitcnt vmcnt(1)
	v_xor_b32_e32 v31, s19, v14
	v_xor_b32_e32 v4, s19, v12
	;; [unrolled: 1-line block ×3, first 2 shown]
	v_and_or_b32 v27, 0x1000100, v27, v30
	v_bfi_b32 v9, v5, v9, v21
	v_mul_lo_u32 v5, 0xff, v25
	v_bfi_b32 v8, v1, v8, v20
	v_mul_lo_u32 v20, 0xff, v27
	v_and_b32_e32 v27, 0xff00ff, v31
	v_bfi_b32 v10, v5, v10, v22
	v_xor_b32_e32 v5, s19, v15
	v_and_b32_e32 v22, 0xff00ff, v26
	v_bfi_b32 v11, v20, v11, v23
	v_and_b32_e32 v20, 0xff00ff, v4
	v_lshrrev_b32_e32 v4, 8, v4
	v_and_b32_e32 v30, 0xff00ff, v5
	v_lshrrev_b32_e32 v26, 8, v26
	v_lshrrev_b32_e32 v5, 8, v5
	v_and_b32_e32 v4, 0xff00ff, v4
	v_and_b32_e32 v26, 0xff00ff, v26
	;; [unrolled: 1-line block ×3, first 2 shown]
	s_waitcnt vmcnt(0)
	v_xnor_b32_e32 v1, s19, v18
	v_xnor_b32_e32 v24, s19, v16
	;; [unrolled: 1-line block ×4, first 2 shown]
	v_and_b32_e32 v29, 0xff00ff, v1
	v_and_b32_e32 v21, 0xff00ff, v24
	v_lshrrev_b32_e32 v24, 8, v24
	v_and_b32_e32 v32, 0xff00ff, v25
	v_lshrrev_b32_e32 v25, 8, v25
	v_add3_u32 v29, v27, v29, 0x1010101
	v_lshrrev_b32_e32 v27, 8, v28
	v_and_b32_e32 v23, 0xff00ff, v28
	v_and_b32_e32 v24, 0xff00ff, v24
	;; [unrolled: 1-line block ×3, first 2 shown]
	v_add3_u32 v33, v20, v21, 0x1010101
	v_and_b32_e32 v27, 0xff00ff, v27
	v_add3_u32 v34, v22, v23, 0x1010101
	global_load_dwordx4 v[20:23], v[96:97], off offset:1024 slc
	v_lshrrev_b32_e32 v28, 8, v31
	v_add3_u32 v4, v4, v24, 0x1010101
	v_add3_u32 v31, v26, v27, 0x1010101
	;; [unrolled: 1-line block ×3, first 2 shown]
	global_load_dwordx4 v[24:27], v[100:101], off offset:1024 slc
	v_lshrrev_b32_e32 v1, 8, v1
	v_add3_u32 v30, v30, v32, 0x1010101
	v_and_b32_e32 v28, 0xff00ff, v28
	v_lshrrev_b32_e32 v29, 8, v29
	v_lshrrev_b32_e32 v32, 8, v34
	v_and_b32_e32 v1, 0xff00ff, v1
	v_lshrrev_b32_e32 v30, 8, v30
	v_and_b32_e32 v29, 0x10001, v29
	v_and_b32_e32 v32, 0x10001, v32
	v_add3_u32 v1, v28, v1, 0x1010101
	v_lshrrev_b32_e32 v28, 8, v33
	v_and_b32_e32 v30, 0x10001, v30
	v_and_or_b32 v31, 0x1000100, v31, v32
	v_and_or_b32 v1, 0x1000100, v1, v29
	v_and_b32_e32 v28, 0x10001, v28
	v_and_or_b32 v5, 0x1000100, v5, v30
	v_mul_lo_u32 v29, 0xff, v31
	v_mul_lo_u32 v1, 0xff, v1
	v_and_or_b32 v4, 0x1000100, v4, v28
	v_mul_lo_u32 v5, 0xff, v5
	v_mul_lo_u32 v4, 0xff, v4
	v_bfi_b32 v13, v29, v13, v17
	v_bfi_b32 v14, v1, v14, v18
	;; [unrolled: 1-line block ×4, first 2 shown]
	s_waitcnt vmcnt(1)
	v_xor_b32_e32 v28, s19, v20
	v_xor_b32_e32 v1, s19, v21
	;; [unrolled: 1-line block ×4, first 2 shown]
	s_waitcnt vmcnt(0)
	v_xnor_b32_e32 v4, s19, v24
	v_xnor_b32_e32 v5, s19, v25
	;; [unrolled: 1-line block ×3, first 2 shown]
	v_and_b32_e32 v29, 0xff00ff, v28
	v_and_b32_e32 v31, 0xff00ff, v1
	;; [unrolled: 1-line block ×4, first 2 shown]
	v_xnor_b32_e32 v19, s19, v27
	v_lshrrev_b32_e32 v28, 8, v28
	v_lshrrev_b32_e32 v4, 8, v4
	v_add3_u32 v29, v29, v30, 0x1010101
	v_and_b32_e32 v30, 0xff00ff, v16
	v_add3_u32 v31, v31, v32, 0x1010101
	v_and_b32_e32 v32, 0xff00ff, v17
	v_and_b32_e32 v33, 0xff00ff, v19
	v_lshrrev_b32_e32 v1, 8, v1
	v_lshrrev_b32_e32 v5, 8, v5
	;; [unrolled: 1-line block ×3, first 2 shown]
	v_add3_u32 v30, v30, v32, 0x1010101
	v_and_b32_e32 v32, 0xff00ff, v18
	v_lshrrev_b32_e32 v17, 8, v17
	v_lshrrev_b32_e32 v18, 8, v18
	;; [unrolled: 1-line block ×3, first 2 shown]
	v_and_b32_e32 v28, 0xff00ff, v28
	v_add3_u32 v32, v32, v33, 0x1010101
	v_and_b32_e32 v4, 0xff00ff, v4
	v_and_b32_e32 v1, 0xff00ff, v1
	;; [unrolled: 1-line block ×7, first 2 shown]
	v_lshrrev_b32_e32 v29, 8, v29
	v_lshrrev_b32_e32 v31, 8, v31
	;; [unrolled: 1-line block ×4, first 2 shown]
	v_add3_u32 v4, v28, v4, 0x1010101
	v_add3_u32 v1, v1, v5, 0x1010101
	;; [unrolled: 1-line block ×4, first 2 shown]
	v_and_b32_e32 v29, 0x10001, v29
	v_and_b32_e32 v31, 0x10001, v31
	;; [unrolled: 1-line block ×4, first 2 shown]
	global_load_dwordx4 v[16:19], v[96:97], off offset:1536 slc
	v_and_or_b32 v4, 0x1000100, v4, v29
	v_and_or_b32 v1, 0x1000100, v1, v31
	;; [unrolled: 1-line block ×4, first 2 shown]
	v_add_co_u32 v96, s16, v96, v45
	v_mul_lo_u32 v4, 0xff, v4
	v_mul_lo_u32 v1, 0xff, v1
	;; [unrolled: 1-line block ×4, first 2 shown]
	v_add_co_ci_u32_e64 v97, null, 0, v97, s16
	v_bfi_b32 v20, v4, v20, v24
	v_bfi_b32 v21, v1, v21, v25
	;; [unrolled: 1-line block ×4, first 2 shown]
	global_load_dwordx4 v[24:27], v[100:101], off offset:1536 slc
	v_add_co_u32 v100, vcc_lo, v100, v45
	v_add_co_ci_u32_e64 v101, null, 0, v101, vcc_lo
	v_cmp_gt_i32_e32 vcc_lo, 1, v81
	s_or_b32 s18, vcc_lo, s18
	s_waitcnt vmcnt(1)
	v_xor_b32_e32 v1, s19, v16
	v_xor_b32_e32 v5, s19, v17
	;; [unrolled: 1-line block ×3, first 2 shown]
	v_and_b32_e32 v30, 0xff00ff, v1
	v_lshrrev_b32_e32 v1, 8, v1
	v_and_b32_e32 v32, 0xff00ff, v5
	v_and_b32_e32 v1, 0xff00ff, v1
	s_waitcnt vmcnt(0)
	v_xnor_b32_e32 v4, s19, v24
	v_xnor_b32_e32 v28, s19, v25
	v_and_b32_e32 v31, 0xff00ff, v4
	v_lshrrev_b32_e32 v4, 8, v4
	v_add3_u32 v75, v30, v31, 0x1010101
	v_and_b32_e32 v4, 0xff00ff, v4
	v_and_b32_e32 v30, 0xff00ff, v28
	;; [unrolled: 1-line block ×3, first 2 shown]
	v_add3_u32 v79, v1, v4, 0x1010101
	v_lshrrev_b32_e32 v1, 8, v5
	v_lshrrev_b32_e32 v4, 8, v28
	v_add3_u32 v76, v32, v30, 0x1010101
	v_xnor_b32_e32 v30, s19, v26
	v_and_b32_e32 v1, 0xff00ff, v1
	v_and_b32_e32 v4, 0xff00ff, v4
	;; [unrolled: 1-line block ×3, first 2 shown]
	v_add3_u32 v88, v1, v4, 0x1010101
	v_lshrrev_b32_e32 v1, 8, v29
	v_lshrrev_b32_e32 v4, 8, v30
	v_add3_u32 v77, v31, v32, 0x1010101
	v_xor_b32_e32 v31, s19, v19
	v_xnor_b32_e32 v32, s19, v27
	v_and_b32_e32 v1, 0xff00ff, v1
	v_and_b32_e32 v4, 0xff00ff, v4
	v_lshrrev_b32_e32 v5, 8, v77
	v_and_b32_e32 v33, 0xff00ff, v31
	v_and_b32_e32 v34, 0xff00ff, v32
	v_add3_u32 v89, v1, v4, 0x1010101
	v_lshrrev_b32_e32 v1, 8, v31
	v_lshrrev_b32_e32 v4, 8, v32
	v_add3_u32 v78, v33, v34, 0x1010101
	v_and_b32_e32 v5, 0x10001, v5
	v_and_b32_e32 v1, 0xff00ff, v1
	;; [unrolled: 1-line block ×3, first 2 shown]
	v_lshrrev_b32_e32 v28, 8, v78
	v_and_or_b32 v5, 0x1000100, v89, v5
	v_add3_u32 v90, v1, v4, 0x1010101
	v_lshrrev_b32_e32 v1, 8, v75
	v_lshrrev_b32_e32 v4, 8, v76
	v_and_b32_e32 v28, 0x10001, v28
	v_mul_lo_u32 v5, 0xff, v5
	v_and_b32_e32 v1, 0x10001, v1
	v_and_b32_e32 v4, 0x10001, v4
	v_and_or_b32 v28, 0x1000100, v90, v28
	v_and_or_b32 v1, 0x1000100, v79, v1
	;; [unrolled: 1-line block ×3, first 2 shown]
	v_mul_lo_u32 v28, 0xff, v28
	v_bfi_b32 v18, v5, v18, v26
	v_mul_lo_u32 v1, 0xff, v1
	v_mul_lo_u32 v4, 0xff, v4
	v_bfi_b32 v19, v28, v19, v27
	v_bfi_b32 v16, v1, v16, v24
	;; [unrolled: 1-line block ×3, first 2 shown]
	global_store_dwordx4 v[98:99], v[8:11], off glc slc
	global_store_dwordx4 v[98:99], v[12:15], off offset:512 glc slc
	global_store_dwordx4 v[98:99], v[20:23], off offset:1024 glc slc
	;; [unrolled: 1-line block ×3, first 2 shown]
	v_add_co_u32 v98, s16, v98, v45
	v_add_co_ci_u32_e64 v99, null, 0, v99, s16
	s_andn2_b32 exec_lo, exec_lo, s18
	s_cbranch_execnz .LBB6_353
; %bb.354:                              ;   in Loop: Header=BB6_272 Depth=3
	s_or_b32 exec_lo, exec_lo, s18
.LBB6_355:                              ;   in Loop: Header=BB6_272 Depth=3
	s_or_b32 exec_lo, exec_lo, s17
	v_lshlrev_b32_e32 v14, 11, v74
	v_mov_b32_e32 v20, 0
	s_mov_b32 s16, 0
	s_mov_b32 s18, exec_lo
                                        ; implicit-def: $vgpr21
                                        ; implicit-def: $vgpr22
	v_cmpx_ne_u32_e64 v3, v14
	s_cbranch_execz .LBB6_361
; %bb.356:                              ;   in Loop: Header=BB6_272 Depth=3
	v_lshlrev_b32_e32 v1, 5, v81
	v_sub_nc_u32_e32 v5, v3, v14
	s_mov_b32 s19, exec_lo
	v_sub_nc_u32_e32 v1, v47, v1
	v_ashrrev_i32_e32 v8, 31, v5
	v_ashrrev_i32_e32 v4, 31, v1
	v_lshrrev_b32_e32 v8, 23, v8
	v_lshrrev_b32_e32 v4, 27, v4
	v_add_nc_u32_e32 v8, v5, v8
	v_add_nc_u32_e32 v4, v1, v4
	v_and_b32_e32 v16, 0xfffffe00, v8
	v_and_b32_e32 v9, 0xffffffe0, v4
	v_sub_nc_u32_e32 v17, v5, v16
	v_sub_nc_u32_e32 v15, v1, v9
	v_ashrrev_i32_e32 v1, 5, v4
	v_ashrrev_i32_e32 v9, 9, v8
	v_cmp_lt_i32_e32 vcc_lo, 15, v17
	v_lshlrev_b32_e32 v4, 4, v15
	v_lshl_add_u32 v8, v1, 9, v4
	v_add_co_ci_u32_e64 v4, null, 0, v9, vcc_lo
	v_sub_nc_u32_e32 v19, v5, v8
	v_sub_nc_u32_e32 v18, v4, v1
	v_cmpx_lt_i32_e32 15, v19
	s_cbranch_execz .LBB6_360
; %bb.357:                              ;   in Loop: Header=BB6_272 Depth=3
	s_trap 2
	ds_read_b64 v[12:13], v0
	v_add_nc_u32_e32 v1, v8, v14
	s_and_b32 s21, s88, 0xff
	s_mov_b32 s20, 0
	s_mul_i32 s21, s21, 0x1010101
	v_ashrrev_i32_e32 v4, 31, v1
	v_add_co_u32 v8, s16, v1, v84
	v_add_co_ci_u32_e64 v9, null, v4, v85, s16
	v_add_co_u32 v10, s16, v1, v86
	v_add_co_ci_u32_e64 v11, null, v4, v87, s16
	s_waitcnt lgkmcnt(0)
	v_add_co_u32 v12, s16, v12, v1
	v_add_co_ci_u32_e64 v13, null, v13, v4, s16
.LBB6_358:                              ;   Parent Loop BB6_47 Depth=1
                                        ;     Parent Loop BB6_269 Depth=2
                                        ;       Parent Loop BB6_272 Depth=3
                                        ; =>      This Inner Loop Header: Depth=4
	global_load_dwordx4 v[20:23], v[12:13], off slc
	global_load_dwordx4 v[24:27], v[8:9], off slc
	v_sub_nc_u32_e32 v19, v19, v43
	v_add_co_u32 v8, s16, v8, v43
	v_add_co_ci_u32_e64 v9, null, 0, v9, s16
	v_add_co_u32 v12, s16, v12, v43
	v_add_co_ci_u32_e64 v13, null, 0, v13, s16
	v_cmp_gt_i32_e64 s16, 16, v19
	v_sub_nc_u32_e32 v18, v18, v115
	s_or_b32 s20, s16, s20
	s_waitcnt vmcnt(1)
	v_xor3_b32 v1, s21, -1, v20
	v_xnor_b32_e32 v4, s21, v21
	v_xnor_b32_e32 v5, s21, v22
	;; [unrolled: 1-line block ×3, first 2 shown]
	s_waitcnt vmcnt(0)
	v_xor_b32_e32 v29, s21, v24
	v_xor_b32_e32 v30, s21, v25
	;; [unrolled: 1-line block ×4, first 2 shown]
	v_and_b32_e32 v33, 0xff00ff, v1
	v_lshrrev_b32_e32 v1, 8, v1
	v_and_b32_e32 v34, 0xff00ff, v4
	v_lshrrev_b32_e32 v4, 8, v4
	;; [unrolled: 2-line block ×3, first 2 shown]
	v_and_b32_e32 v54, 0xff00ff, v28
	v_and_b32_e32 v55, 0xff00ff, v29
	v_lshrrev_b32_e32 v29, 8, v29
	v_and_b32_e32 v64, 0xff00ff, v30
	v_lshrrev_b32_e32 v30, 8, v30
	v_and_b32_e32 v65, 0xff00ff, v31
	v_lshrrev_b32_e32 v31, 8, v31
	v_and_b32_e32 v70, 0xff00ff, v32
	v_lshrrev_b32_e32 v28, 8, v28
	v_lshrrev_b32_e32 v32, 8, v32
	v_and_b32_e32 v1, 0xff00ff, v1
	v_and_b32_e32 v4, 0xff00ff, v4
	;; [unrolled: 1-line block ×3, first 2 shown]
	v_add3_u32 v33, v55, v33, 0x1010101
	v_and_b32_e32 v29, 0xff00ff, v29
	v_add3_u32 v34, v64, v34, 0x1010101
	v_and_b32_e32 v30, 0xff00ff, v30
	;; [unrolled: 2-line block ×4, first 2 shown]
	v_and_b32_e32 v32, 0xff00ff, v32
	v_add3_u32 v1, v29, v1, 0x1010101
	v_lshrrev_b32_e32 v29, 8, v33
	v_add3_u32 v4, v30, v4, 0x1010101
	v_lshrrev_b32_e32 v30, 8, v34
	;; [unrolled: 2-line block ×3, first 2 shown]
	v_lshrrev_b32_e32 v33, 8, v54
	v_add3_u32 v28, v32, v28, 0x1010101
	v_and_b32_e32 v29, 0x10001, v29
	v_and_b32_e32 v30, 0x10001, v30
	;; [unrolled: 1-line block ×4, first 2 shown]
	v_and_or_b32 v1, 0x1000100, v1, v29
	v_and_or_b32 v4, 0x1000100, v4, v30
	v_and_or_b32 v5, 0x1000100, v5, v31
	v_and_or_b32 v28, 0x1000100, v28, v32
	v_mul_lo_u32 v1, 0xff, v1
	v_mul_lo_u32 v4, 0xff, v4
	;; [unrolled: 1-line block ×4, first 2 shown]
	v_bfi_b32 v20, v1, v24, v20
	v_bfi_b32 v21, v4, v25, v21
	v_bfi_b32 v22, v5, v26, v22
	v_bfi_b32 v23, v28, v27, v23
	global_store_dwordx4 v[10:11], v[20:23], off glc slc
	v_add_co_u32 v10, s17, v10, v43
	v_add_co_ci_u32_e64 v11, null, 0, v11, s17
	s_andn2_b32 exec_lo, exec_lo, s20
	s_cbranch_execnz .LBB6_358
; %bb.359:                              ;   in Loop: Header=BB6_272 Depth=3
	s_or_b32 exec_lo, exec_lo, s20
.LBB6_360:                              ;   in Loop: Header=BB6_272 Depth=3
	s_or_b32 exec_lo, exec_lo, s19
	v_and_b32_e32 v1, 15, v3
	v_cmp_lt_i32_e64 s16, 0, v18
	v_sub_nc_u32_e32 v4, v17, v1
	v_cndmask_b32_e64 v5, 0, v115, s16
	v_cndmask_b32_e32 v21, v17, v1, vcc_lo
	v_cndmask_b32_e32 v1, 0, v4, vcc_lo
	v_sub_nc_u32_e32 v4, v5, v18
	v_cmp_ne_u32_e32 vcc_lo, 0, v21
	v_add3_u32 v20, v16, v14, v1
	v_lshl_add_u32 v22, v4, 5, v15
	s_and_b32 s16, vcc_lo, exec_lo
.LBB6_361:                              ;   in Loop: Header=BB6_272 Depth=3
	s_or_b32 exec_lo, exec_lo, s18
	s_and_saveexec_b32 s89, s16
	s_cbranch_execz .LBB6_370
.LBB6_362:                              ;   in Loop: Header=BB6_272 Depth=3
	v_ashrrev_i32_e32 v1, 31, v22
	v_ashrrev_i32_e32 v4, 31, v21
	s_mov_b32 s90, exec_lo
	v_lshrrev_b32_e32 v1, 27, v1
	v_lshrrev_b32_e32 v4, 22, v4
	v_add_nc_u32_e32 v8, v22, v1
	v_add_nc_u32_e32 v1, v21, v4
	v_ashrrev_i32_e32 v23, 5, v8
	v_ashrrev_i32_e32 v25, 10, v1
	v_sub_nc_u32_e32 v24, v25, v23
	v_cmpx_lt_i32_e32 0, v24
	s_cbranch_execz .LBB6_366
; %bb.363:                              ;   in Loop: Header=BB6_272 Depth=3
	v_and_b32_e32 v1, 0xffffffe0, v8
	s_trap 2
	ds_read_b64 v[10:11], v0
	v_lshlrev_b32_e32 v4, 10, v23
	v_add_co_u32 v5, vcc_lo, 0x3e0, v86
	v_sub_nc_u32_e32 v1, v22, v1
	v_add_co_ci_u32_e64 v13, null, 0, v87, vcc_lo
	s_and_b32 s91, s88, 0xff
	s_mov_b32 s92, 0
	v_add3_u32 v1, v20, v1, v4
	v_ashrrev_i32_e32 v4, 31, v1
	v_add_co_u32 v8, vcc_lo, v1, v84
	v_add_co_ci_u32_e64 v9, null, v4, v85, vcc_lo
	s_waitcnt lgkmcnt(0)
	v_add_co_u32 v10, vcc_lo, v10, v1
	v_add_co_ci_u32_e64 v11, null, v11, v4, vcc_lo
	v_add_co_u32 v12, vcc_lo, v5, v1
	v_add_co_ci_u32_e64 v13, null, v13, v4, vcc_lo
.LBB6_364:                              ;   Parent Loop BB6_47 Depth=1
                                        ;     Parent Loop BB6_269 Depth=2
                                        ;       Parent Loop BB6_272 Depth=3
                                        ; =>      This Inner Loop Header: Depth=4
	flat_load_ubyte v1, v[8:9] slc
	flat_load_ubyte v4, v[10:11] slc
	flat_load_ubyte v106, v[8:9] offset:32 slc
	flat_load_ubyte v107, v[10:11] offset:32 slc
	;; [unrolled: 1-line block ×25, first 2 shown]
	v_sub_nc_u32_e32 v24, v24, v115
	s_waitcnt vmcnt(26) lgkmcnt(26)
	v_xor_b32_e32 v5, s91, v1
	s_waitcnt vmcnt(25) lgkmcnt(25)
	v_xor_b32_e32 v14, s91, v4
	v_cmp_lt_u16_e32 vcc_lo, v5, v14
	v_cndmask_b32_e32 v126, v4, v1, vcc_lo
	flat_load_ubyte v1, v[10:11] offset:416 slc
	flat_load_ubyte v4, v[8:9] offset:448 slc
	;; [unrolled: 1-line block ×3, first 2 shown]
	s_clause 0x9
	flat_load_ubyte v28, v[8:9] offset:480 slc
	flat_load_ubyte v29, v[8:9] offset:512 slc
	flat_load_ubyte v31, v[8:9] offset:544 slc
	flat_load_ubyte v35, v[8:9] offset:576 slc
	flat_load_ubyte v30, v[8:9] offset:608 slc
	flat_load_ubyte v33, v[8:9] offset:640 slc
	flat_load_ubyte v32, v[8:9] offset:672 slc
	flat_load_ubyte v77, v[8:9] offset:704 slc
	flat_load_ubyte v78, v[8:9] offset:736 slc
	flat_load_ubyte v76, v[8:9] offset:768 slc
	flat_load_ubyte v54, v[10:11] offset:480 slc
	s_clause 0x6
	flat_load_ubyte v95, v[8:9] offset:800 slc
	flat_load_ubyte v93, v[8:9] offset:832 slc
	;; [unrolled: 1-line block ×7, first 2 shown]
	s_clause 0xf
	flat_load_ubyte v55, v[10:11] offset:512 slc
	flat_load_ubyte v64, v[10:11] offset:544 slc
	;; [unrolled: 1-line block ×16, first 2 shown]
	v_add_co_u32 v14, vcc_lo, 0xfffffc20, v12
	v_add_co_ci_u32_e64 v15, null, -1, v13, vcc_lo
	flat_store_byte v[14:15], v126 glc slc
	s_waitcnt vmcnt(61) lgkmcnt(62)
	v_xor_b32_e32 v14, s91, v106
	s_waitcnt vmcnt(60) lgkmcnt(61)
	v_xor_b32_e32 v15, s91, v107
	v_cmp_lt_u16_e32 vcc_lo, v14, v15
	v_cndmask_b32_e32 v116, v107, v106, vcc_lo
	v_add_co_u32 v14, vcc_lo, 0xfffffc40, v12
	v_add_co_ci_u32_e64 v15, null, -1, v13, vcc_lo
	flat_store_byte v[14:15], v116 glc slc
	s_waitcnt vmcnt(59) lgkmcnt(61)
	v_xor_b32_e32 v14, s91, v104
	s_waitcnt vmcnt(58) lgkmcnt(60)
	v_xor_b32_e32 v15, s91, v105
	v_cmp_lt_u16_e32 vcc_lo, v14, v15
	v_cndmask_b32_e32 v116, v105, v104, vcc_lo
	;; [unrolled: 9-line block ×10, first 2 shown]
	v_add_co_u32 v14, vcc_lo, 0xfffffd60, v12
	v_add_co_ci_u32_e64 v15, null, -1, v13, vcc_lo
	flat_store_byte v[14:15], v26 glc slc
	s_waitcnt vmcnt(41) lgkmcnt(52)
	v_xor_b32_e32 v14, s91, v18
	s_waitcnt vmcnt(40) lgkmcnt(51)
	v_xor_b32_e32 v15, s91, v19
	v_add_co_u32 v26, s28, 0xffffff40, v12
	v_add_co_ci_u32_e64 v27, null, -1, v13, s28
	v_cmp_lt_u16_e32 vcc_lo, v14, v15
	v_cndmask_b32_e32 v18, v19, v18, vcc_lo
	v_add_co_u32 v14, vcc_lo, 0xfffffd80, v12
	v_add_co_ci_u32_e64 v15, null, -1, v13, vcc_lo
	flat_store_byte v[14:15], v18 glc slc
	s_waitcnt vmcnt(39) lgkmcnt(51)
	v_xor_b32_e32 v14, s91, v16
	s_waitcnt vmcnt(38) lgkmcnt(50)
	v_xor_b32_e32 v15, s91, v17
	v_cmp_lt_u16_e32 vcc_lo, v14, v15
	v_cndmask_b32_e32 v16, v17, v16, vcc_lo
	v_add_co_u32 v14, vcc_lo, 0xfffffda0, v12
	v_add_co_ci_u32_e64 v15, null, -1, v13, vcc_lo
	v_add_co_u32 v17, s17, 0xfffffec0, v12
	v_add_co_ci_u32_e64 v18, null, -1, v13, s17
	flat_store_byte v[14:15], v16 glc slc
	s_waitcnt vmcnt(37) lgkmcnt(50)
	v_xor_b32_e32 v14, s91, v96
	s_waitcnt vmcnt(36) lgkmcnt(49)
	v_xor_b32_e32 v15, s91, v1
	v_cmp_lt_u16_e32 vcc_lo, v14, v15
	v_cndmask_b32_e32 v1, v1, v96, vcc_lo
	v_add_co_u32 v14, vcc_lo, 0xfffffdc0, v12
	v_add_co_ci_u32_e64 v15, null, -1, v13, vcc_lo
	flat_store_byte v[14:15], v1 glc slc
	s_waitcnt vmcnt(35) lgkmcnt(49)
	v_xor_b32_e32 v1, s91, v4
	s_waitcnt vmcnt(34) lgkmcnt(48)
	v_xor_b32_e32 v14, s91, v5
	v_cmp_lt_u16_e32 vcc_lo, v1, v14
	v_cndmask_b32_e32 v1, v5, v4, vcc_lo
	v_add_co_u32 v14, vcc_lo, 0xfffffde0, v12
	v_add_co_ci_u32_e64 v15, null, -1, v13, vcc_lo
	s_waitcnt vmcnt(23) lgkmcnt(37)
	v_xor_b32_e32 v4, s91, v54
	flat_store_byte v[14:15], v1 glc slc
	v_xor_b32_e32 v1, s91, v28
	v_cmp_lt_u16_e32 vcc_lo, v1, v4
	s_waitcnt vmcnt(15) lgkmcnt(30)
	v_xor_b32_e32 v4, s91, v55
	v_cndmask_b32_e32 v1, v54, v28, vcc_lo
	v_add_co_u32 v14, vcc_lo, 0xfffffe00, v12
	v_add_co_ci_u32_e64 v15, null, -1, v13, vcc_lo
	flat_store_byte v[14:15], v1 glc slc
	v_xor_b32_e32 v1, s91, v29
	v_cmp_lt_u16_e32 vcc_lo, v1, v4
	s_waitcnt vmcnt(14) lgkmcnt(30)
	v_xor_b32_e32 v4, s91, v64
	v_cndmask_b32_e32 v1, v55, v29, vcc_lo
	v_add_co_u32 v14, vcc_lo, 0xfffffe20, v12
	v_add_co_ci_u32_e64 v15, null, -1, v13, vcc_lo
	;; [unrolled: 8-line block ×4, first 2 shown]
	flat_store_byte v[14:15], v1 glc slc
	v_xor_b32_e32 v1, s91, v30
	v_add_co_u32 v14, s16, 0xfffffe80, v12
	v_add_co_ci_u32_e64 v15, null, -1, v13, s16
	v_cmp_lt_u16_e32 vcc_lo, v1, v4
	s_waitcnt vmcnt(11) lgkmcnt(30)
	v_xor_b32_e32 v4, s91, v71
	v_cndmask_b32_e32 v1, v70, v30, vcc_lo
	flat_store_byte v[14:15], v1 glc slc
	v_xor_b32_e32 v1, s91, v33
	v_add_co_u32 v14, vcc_lo, 0xfffffea0, v12
	v_add_co_ci_u32_e64 v15, null, -1, v13, vcc_lo
	v_cmp_lt_u16_e64 s16, v1, v4
	s_waitcnt vmcnt(10) lgkmcnt(30)
	v_xor_b32_e32 v4, s91, v34
	v_cndmask_b32_e64 v1, v71, v33, s16
	v_add_co_u32 v16, s16, 0xffffff00, v12
	flat_store_byte v[14:15], v1 glc slc
	v_xor_b32_e32 v1, s91, v32
	v_add_co_u32 v14, vcc_lo, 0xfffffee0, v12
	v_add_co_ci_u32_e64 v15, null, -1, v13, vcc_lo
	v_cmp_lt_u16_e64 s18, v1, v4
	s_waitcnt vmcnt(9) lgkmcnt(30)
	v_xor_b32_e32 v4, s91, v108
	v_cmp_gt_i32_e32 vcc_lo, 1, v24
	v_cndmask_b32_e64 v1, v34, v32, s18
	s_or_b32 s92, vcc_lo, s92
	flat_store_byte v[17:18], v1 glc slc
	v_xor_b32_e32 v1, s91, v77
	v_add_co_u32 v18, s17, 0xffffff20, v12
	v_add_co_ci_u32_e64 v17, null, -1, v13, s16
	v_cmp_lt_u16_e64 s18, v1, v4
	v_xor_b32_e32 v1, s91, v78
	s_waitcnt vmcnt(8) lgkmcnt(30)
	v_xor_b32_e32 v4, s91, v109
	v_add_co_ci_u32_e64 v19, null, -1, v13, s17
	v_cmp_lt_u16_e64 s19, v1, v4
	v_xor_b32_e32 v1, s91, v76
	s_waitcnt vmcnt(7) lgkmcnt(29)
	v_xor_b32_e32 v4, s91, v110
	v_cmp_lt_u16_e64 s20, v1, v4
	v_xor_b32_e32 v1, s91, v95
	s_waitcnt vmcnt(6) lgkmcnt(28)
	v_xor_b32_e32 v4, s91, v111
	v_cndmask_b32_e64 v5, v110, v76, s20
	v_add_co_u32 v84, s20, 0xffffffa0, v12
	v_cmp_lt_u16_e64 s21, v1, v4
	v_xor_b32_e32 v1, s91, v93
	s_waitcnt vmcnt(5) lgkmcnt(27)
	v_xor_b32_e32 v4, s91, v124
	v_add_co_ci_u32_e64 v85, null, -1, v13, s20
	v_cndmask_b32_e64 v28, v111, v95, s21
	v_add_co_u32 v86, s21, 0xffffffc0, v12
	v_cmp_lt_u16_e64 s22, v1, v4
	v_xor_b32_e32 v1, s91, v94
	s_waitcnt vmcnt(4) lgkmcnt(26)
	v_xor_b32_e32 v4, s91, v125
	v_add_co_ci_u32_e64 v87, null, -1, v13, s21
	;; [unrolled: 7-line block ×3, first 2 shown]
	v_cndmask_b32_e64 v30, v125, v94, s23
	v_add_co_u32 v8, s23, v8, v44
	v_cmp_lt_u16_e64 s24, v1, v4
	v_xor_b32_e32 v1, s91, v92
	s_waitcnt vmcnt(2) lgkmcnt(24)
	v_xor_b32_e32 v4, s91, v123
	v_add_co_ci_u32_e64 v9, null, 0, v9, s23
	v_cndmask_b32_e64 v31, v122, v91, s24
	v_add_co_u32 v10, s24, v10, v44
	v_cmp_lt_u16_e64 s25, v1, v4
	v_xor_b32_e32 v1, s91, v89
	s_waitcnt vmcnt(1) lgkmcnt(23)
	v_xor_b32_e32 v4, s91, v120
	v_add_co_ci_u32_e64 v11, null, 0, v11, s24
	v_cndmask_b32_e64 v54, v123, v92, s25
	v_cmp_lt_u16_e64 s26, v1, v4
	v_xor_b32_e32 v1, s91, v90
	s_waitcnt vmcnt(0) lgkmcnt(22)
	v_xor_b32_e32 v4, s91, v121
	v_cndmask_b32_e64 v55, v120, v89, s26
	v_cmp_lt_u16_e64 s27, v1, v4
	v_cndmask_b32_e64 v1, v108, v77, s18
	v_cndmask_b32_e64 v4, v109, v78, s19
	v_add_co_u32 v32, s18, 0xffffff60, v12
	v_add_co_u32 v34, s19, 0xffffff80, v12
	v_add_co_ci_u32_e64 v33, null, -1, v13, s18
	v_cndmask_b32_e64 v64, v121, v90, s27
	v_add_co_ci_u32_e64 v35, null, -1, v13, s19
	flat_store_byte v[14:15], v1 glc slc
	flat_store_byte v[16:17], v4 glc slc
	;; [unrolled: 1-line block ×10, first 2 shown]
	v_add_co_u32 v12, s16, v12, v44
	v_add_co_ci_u32_e64 v13, null, 0, v13, s16
	s_andn2_b32 exec_lo, exec_lo, s92
	s_cbranch_execnz .LBB6_364
; %bb.365:                              ;   in Loop: Header=BB6_272 Depth=3
	s_or_b32 exec_lo, exec_lo, s92
.LBB6_366:                              ;   in Loop: Header=BB6_272 Depth=3
	s_or_b32 exec_lo, exec_lo, s90
	v_lshlrev_b32_e32 v8, 10, v25
	v_cmp_ne_u32_e32 vcc_lo, v21, v8
	s_and_b32 exec_lo, exec_lo, vcc_lo
	s_cbranch_execz .LBB6_370
; %bb.367:                              ;   in Loop: Header=BB6_272 Depth=3
	v_lshlrev_b32_e32 v1, 5, v23
	v_lshlrev_b32_e32 v4, 5, v24
	v_sub_nc_u32_e32 v1, v22, v1
	v_sub_nc_u32_e32 v1, v1, v4
	v_add_nc_u32_e32 v8, v8, v1
	v_sub_nc_u32_e32 v14, v21, v8
	v_cmp_lt_i32_e32 vcc_lo, 0, v14
	s_and_b32 exec_lo, exec_lo, vcc_lo
	s_cbranch_execz .LBB6_370
; %bb.368:                              ;   in Loop: Header=BB6_272 Depth=3
	s_trap 2
	ds_read_b128 v[9:12], v0
	ds_read_b64 v[15:16], v0
	v_add_nc_u32_e32 v1, v8, v20
	s_and_b32 s17, s88, 0xff
	s_mov_b32 s18, 0
	v_ashrrev_i32_e32 v4, 31, v1
	s_waitcnt lgkmcnt(1)
	v_add_co_u32 v8, vcc_lo, v9, v1
	v_add_co_ci_u32_e64 v9, null, v10, v4, vcc_lo
	v_add_co_u32 v10, vcc_lo, v11, v1
	v_add_co_ci_u32_e64 v11, null, v12, v4, vcc_lo
	s_waitcnt lgkmcnt(0)
	v_add_co_u32 v12, vcc_lo, v15, v1
	v_add_co_ci_u32_e64 v13, null, v16, v4, vcc_lo
	.p2align	6
.LBB6_369:                              ;   Parent Loop BB6_47 Depth=1
                                        ;     Parent Loop BB6_269 Depth=2
                                        ;       Parent Loop BB6_272 Depth=3
                                        ; =>      This Inner Loop Header: Depth=4
	flat_load_ubyte v1, v[10:11] slc
	flat_load_ubyte v4, v[8:9] slc
	v_sub_nc_u32_e32 v14, v14, v118
	v_add_co_u32 v8, vcc_lo, v8, v118
	v_add_co_ci_u32_e64 v9, null, 0, v9, vcc_lo
	v_add_co_u32 v10, vcc_lo, v10, v118
	v_add_co_ci_u32_e64 v11, null, 0, v11, vcc_lo
	v_cmp_gt_i32_e32 vcc_lo, 1, v14
	s_or_b32 s18, vcc_lo, s18
	s_waitcnt vmcnt(1) lgkmcnt(1)
	v_xor_b32_e32 v5, s17, v1
	s_waitcnt vmcnt(0) lgkmcnt(0)
	v_xor_b32_e32 v15, s17, v4
	v_cmp_lt_u16_e64 s16, v15, v5
	v_cndmask_b32_e64 v1, v1, v4, s16
	flat_store_byte v[12:13], v1 glc slc
	v_add_co_u32 v12, s16, v12, v118
	v_add_co_ci_u32_e64 v13, null, 0, v13, s16
	s_andn2_b32 exec_lo, exec_lo, s18
	s_cbranch_execnz .LBB6_369
.LBB6_370:                              ;   in Loop: Header=BB6_272 Depth=3
	s_or_b32 exec_lo, exec_lo, s89
	v_cmp_lt_i32_e64 s16, 0, v3
	s_and_saveexec_b32 s17, s6
	s_cbranch_execz .LBB6_347
.LBB6_371:                              ;   in Loop: Header=BB6_272 Depth=3
	s_and_saveexec_b32 s18, s46
	s_xor_b32 s18, exec_lo, s18
	s_cbranch_execz .LBB6_386
; %bb.372:                              ;   in Loop: Header=BB6_272 Depth=3
	s_and_saveexec_b32 s19, s11
	s_cbranch_execz .LBB6_385
; %bb.373:                              ;   in Loop: Header=BB6_272 Depth=3
	s_mov_b32 s21, exec_lo
	s_mov_b32 s20, exec_lo
	v_mbcnt_lo_u32_b32 v1, s21, 0
	s_waitcnt vmcnt(0) lgkmcnt(0)
	s_waitcnt_vscnt null, 0x0
	buffer_gl1_inv
	buffer_gl0_inv
	v_cmpx_eq_u32_e32 0, v1
	s_cbranch_execz .LBB6_375
; %bb.374:                              ;   in Loop: Header=BB6_272 Depth=3
	s_bcnt1_i32_b32 s21, s21
	v_mov_b32_e32 v9, v2
	v_mov_b32_e32 v8, s21
	ds_add_u64 v0, v[8:9]
	s_trap 2
.LBB6_375:                              ;   in Loop: Header=BB6_272 Depth=3
	s_or_b32 exec_lo, exec_lo, s20
	s_trap 2
	ds_read_b64 v[8:9], v0
	s_waitcnt lgkmcnt(0)
	buffer_gl0_inv
	v_add_co_u32 v50, vcc_lo, v50, v115
	v_add_co_ci_u32_e64 v51, null, 0, v51, vcc_lo
	s_mov_b32 s20, exec_lo
	v_cmpx_lt_u64_e64 v[8:9], v[50:51]
	s_cbranch_execz .LBB6_384
; %bb.376:                              ;   in Loop: Header=BB6_272 Depth=3
	s_mov_b32 s21, 0
	s_mov_b32 s24, 0
                                        ; implicit-def: $sgpr22
                                        ; implicit-def: $sgpr23
	s_inst_prefetch 0x1
	s_branch .LBB6_378
	.p2align	6
.LBB6_377:                              ;   in Loop: Header=BB6_378 Depth=4
	s_or_b32 exec_lo, exec_lo, s26
	s_and_b32 s25, exec_lo, s27
	s_or_b32 s21, s25, s21
	s_andn2_b32 s22, s22, exec_lo
	s_and_b32 s25, s23, exec_lo
	s_or_b32 s22, s22, s25
	s_andn2_b32 exec_lo, exec_lo, s21
	s_cbranch_execz .LBB6_382
.LBB6_378:                              ;   Parent Loop BB6_47 Depth=1
                                        ;     Parent Loop BB6_269 Depth=2
                                        ;       Parent Loop BB6_272 Depth=3
                                        ; =>      This Inner Loop Header: Depth=4
	s_add_i32 s24, s24, 1
	s_cmpk_lg_i32 s24, 0x2710
	s_cselect_b32 s25, -1, 0
	s_and_b32 vcc_lo, exec_lo, s25
	s_cbranch_vccz .LBB6_380
; %bb.379:                              ;   in Loop: Header=BB6_378 Depth=4
	s_mov_b32 s27, -1
	s_or_b32 s23, s23, exec_lo
	s_and_saveexec_b32 s26, s25
	s_cbranch_execz .LBB6_377
	s_branch .LBB6_381
	.p2align	6
.LBB6_380:                              ;   in Loop: Header=BB6_378 Depth=4
	s_trap 2
	ds_read_b64 v[8:9], v0
	s_andn2_b32 s25, s25, exec_lo
	s_mov_b32 s24, 0
	s_waitcnt lgkmcnt(0)
	flat_load_dword v1, v[8:9] glc dlc
	s_waitcnt vmcnt(0) lgkmcnt(0)
	buffer_gl1_inv
	buffer_gl0_inv
	v_cmp_eq_u32_e32 vcc_lo, 0, v1
	s_and_b32 s26, vcc_lo, exec_lo
	s_or_b32 s25, s25, s26
	s_mov_b32 s27, -1
	s_or_b32 s23, s23, exec_lo
	s_and_saveexec_b32 s26, s25
	s_cbranch_execz .LBB6_377
.LBB6_381:                              ;   in Loop: Header=BB6_378 Depth=4
	s_sleep 1
	s_trap 2
	ds_read_b64 v[8:9], v0
	s_waitcnt lgkmcnt(0)
	buffer_gl0_inv
	s_andn2_b32 s23, s23, exec_lo
	v_cmp_ge_u64_e32 vcc_lo, v[8:9], v[50:51]
	s_orn2_b32 s27, vcc_lo, exec_lo
	s_branch .LBB6_377
.LBB6_382:                              ;   in Loop: Header=BB6_272 Depth=3
	s_inst_prefetch 0x2
	s_or_b32 exec_lo, exec_lo, s21
	s_and_saveexec_b32 s21, s22
	s_xor_b32 s21, exec_lo, s21
	s_cbranch_execz .LBB6_384
; %bb.383:                              ;   in Loop: Header=BB6_272 Depth=3
	ds_write_b32 v0, v119
	s_trap 2
.LBB6_384:                              ;   in Loop: Header=BB6_272 Depth=3
	s_or_b32 exec_lo, exec_lo, s20
	;;#ASMSTART
	s_wakeup
	;;#ASMEND
.LBB6_385:                              ;   in Loop: Header=BB6_272 Depth=3
	s_or_b32 exec_lo, exec_lo, s19
.LBB6_386:                              ;   in Loop: Header=BB6_272 Depth=3
	s_andn2_saveexec_b32 s18, s18
	s_cbranch_execz .LBB6_388
; %bb.387:                              ;   in Loop: Header=BB6_272 Depth=3
	s_waitcnt vmcnt(0) lgkmcnt(0)
	s_waitcnt_vscnt null, 0x0
	buffer_gl1_inv
	buffer_gl0_inv
	s_barrier
.LBB6_388:                              ;   in Loop: Header=BB6_272 Depth=3
	s_or_b32 exec_lo, exec_lo, s18
	s_or_b32 exec_lo, exec_lo, s17
                                        ; implicit-def: $vgpr3
	s_and_saveexec_b32 s17, s15
	s_xor_b32 s17, exec_lo, s17
	s_cbranch_execnz .LBB6_348
.LBB6_389:                              ;   in Loop: Header=BB6_272 Depth=3
	s_andn2_saveexec_b32 s16, s17
	s_cbranch_execz .LBB6_408
.LBB6_390:                              ;   in Loop: Header=BB6_272 Depth=3
	s_and_saveexec_b32 s17, s46
	s_xor_b32 s17, exec_lo, s17
	s_cbranch_execz .LBB6_405
; %bb.391:                              ;   in Loop: Header=BB6_272 Depth=3
	s_and_saveexec_b32 s18, s11
	s_cbranch_execz .LBB6_404
; %bb.392:                              ;   in Loop: Header=BB6_272 Depth=3
	s_mov_b32 s20, exec_lo
	s_mov_b32 s19, exec_lo
	v_mbcnt_lo_u32_b32 v1, s20, 0
	;;#ASMSTART
	s_waitcnt lgkmcnt(0) vmcnt(0)
	;;#ASMEND
	v_cmpx_eq_u32_e32 0, v1
	s_cbranch_execz .LBB6_394
; %bb.393:                              ;   in Loop: Header=BB6_272 Depth=3
	s_bcnt1_i32_b32 s20, s20
	v_mov_b32_e32 v9, v2
	v_mov_b32_e32 v8, s20
	s_waitcnt vmcnt(0) lgkmcnt(0)
	s_waitcnt_vscnt null, 0x0
	ds_add_u64 v0, v[8:9]
	s_trap 2
.LBB6_394:                              ;   in Loop: Header=BB6_272 Depth=3
	s_or_b32 exec_lo, exec_lo, s19
	s_trap 2
	ds_read_b64 v[8:9], v0
	s_waitcnt vmcnt(0) lgkmcnt(0)
	buffer_gl0_inv
	v_add_co_u32 v50, vcc_lo, v50, v115
	v_add_co_ci_u32_e64 v51, null, 0, v51, vcc_lo
	s_mov_b32 s19, exec_lo
	v_cmpx_lt_u64_e64 v[8:9], v[50:51]
	s_cbranch_execz .LBB6_403
; %bb.395:                              ;   in Loop: Header=BB6_272 Depth=3
	s_mov_b32 s20, 0
	s_mov_b32 s23, 0
                                        ; implicit-def: $sgpr21
                                        ; implicit-def: $sgpr22
	s_inst_prefetch 0x1
	s_branch .LBB6_397
	.p2align	6
.LBB6_396:                              ;   in Loop: Header=BB6_397 Depth=4
	s_or_b32 exec_lo, exec_lo, s25
	s_and_b32 s24, exec_lo, s26
	s_or_b32 s20, s24, s20
	s_andn2_b32 s21, s21, exec_lo
	s_and_b32 s24, s22, exec_lo
	s_or_b32 s21, s21, s24
	s_andn2_b32 exec_lo, exec_lo, s20
	s_cbranch_execz .LBB6_401
.LBB6_397:                              ;   Parent Loop BB6_47 Depth=1
                                        ;     Parent Loop BB6_269 Depth=2
                                        ;       Parent Loop BB6_272 Depth=3
                                        ; =>      This Inner Loop Header: Depth=4
	s_add_i32 s23, s23, 1
	s_cmpk_lg_i32 s23, 0x2710
	s_cselect_b32 s24, -1, 0
	s_and_b32 vcc_lo, exec_lo, s24
	s_cbranch_vccz .LBB6_399
; %bb.398:                              ;   in Loop: Header=BB6_397 Depth=4
	s_mov_b32 s26, -1
	s_or_b32 s22, s22, exec_lo
	s_and_saveexec_b32 s25, s24
	s_cbranch_execz .LBB6_396
	s_branch .LBB6_400
	.p2align	6
.LBB6_399:                              ;   in Loop: Header=BB6_397 Depth=4
	s_trap 2
	ds_read_b64 v[8:9], v0
	s_andn2_b32 s24, s24, exec_lo
	s_mov_b32 s23, 0
	s_waitcnt lgkmcnt(0)
	s_waitcnt_vscnt null, 0x0
	flat_load_dword v1, v[8:9] glc dlc
	s_waitcnt vmcnt(0) lgkmcnt(0)
	buffer_gl1_inv
	buffer_gl0_inv
	v_cmp_eq_u32_e32 vcc_lo, 0, v1
	s_and_b32 s25, vcc_lo, exec_lo
	s_or_b32 s24, s24, s25
	s_mov_b32 s26, -1
	s_or_b32 s22, s22, exec_lo
	s_and_saveexec_b32 s25, s24
	s_cbranch_execz .LBB6_396
.LBB6_400:                              ;   in Loop: Header=BB6_397 Depth=4
	s_sleep 1
	s_trap 2
	ds_read_b64 v[8:9], v0
	s_waitcnt lgkmcnt(0)
	buffer_gl0_inv
	s_andn2_b32 s22, s22, exec_lo
	v_cmp_ge_u64_e32 vcc_lo, v[8:9], v[50:51]
	s_orn2_b32 s26, vcc_lo, exec_lo
	s_branch .LBB6_396
.LBB6_401:                              ;   in Loop: Header=BB6_272 Depth=3
	s_inst_prefetch 0x2
	s_or_b32 exec_lo, exec_lo, s20
	s_and_saveexec_b32 s20, s21
	s_xor_b32 s20, exec_lo, s20
	s_cbranch_execz .LBB6_403
; %bb.402:                              ;   in Loop: Header=BB6_272 Depth=3
	ds_write_b32 v0, v119
	s_trap 2
.LBB6_403:                              ;   in Loop: Header=BB6_272 Depth=3
	s_or_b32 exec_lo, exec_lo, s19
	;;#ASMSTART
	s_wakeup
	;;#ASMEND
.LBB6_404:                              ;   in Loop: Header=BB6_272 Depth=3
	s_or_b32 exec_lo, exec_lo, s18
.LBB6_405:                              ;   in Loop: Header=BB6_272 Depth=3
	s_andn2_saveexec_b32 s17, s17
	s_cbranch_execz .LBB6_407
; %bb.406:                              ;   in Loop: Header=BB6_272 Depth=3
	;;#ASMSTART
	s_waitcnt lgkmcnt(0) vmcnt(0)
	;;#ASMEND
	s_barrier
.LBB6_407:                              ;   in Loop: Header=BB6_272 Depth=3
	s_or_b32 exec_lo, exec_lo, s17
	v_and_b32_e32 v3, 16, v112
.LBB6_408:                              ;   in Loop: Header=BB6_272 Depth=3
	s_or_b32 exec_lo, exec_lo, s16
	v_cmp_ne_u32_e32 vcc_lo, 0, v3
	s_xor_b32 s16, s7, -1
	s_and_b32 s17, vcc_lo, s16
	s_and_saveexec_b32 s16, s17
	s_cbranch_execz .LBB6_410
; %bb.409:                              ;   in Loop: Header=BB6_272 Depth=3
	s_waitcnt vmcnt(0) lgkmcnt(0)
	s_waitcnt_vscnt null, 0x0
	flat_store_dword v[48:49], v119
.LBB6_410:                              ;   in Loop: Header=BB6_272 Depth=3
	s_or_b32 exec_lo, exec_lo, s16
	v_and_b32_e32 v1, 48, v112
	s_mov_b32 s16, exec_lo
	v_cmpx_ne_u32_e32 0, v1
	s_cbranch_execz .LBB6_271
; %bb.411:                              ;   in Loop: Header=BB6_272 Depth=3
	v_add_co_u32 v68, vcc_lo, v68, 2
	v_add_co_ci_u32_e64 v69, null, 0, v69, vcc_lo
	s_waitcnt vmcnt(0) lgkmcnt(0)
	s_waitcnt_vscnt null, 0x0
	flat_store_dwordx2 v[36:37], v[68:69]
	s_branch .LBB6_271
.LBB6_412:                              ;   in Loop: Header=BB6_269 Depth=2
	s_or_b32 exec_lo, exec_lo, s77
.LBB6_413:                              ;   in Loop: Header=BB6_269 Depth=2
	s_or_b32 exec_lo, exec_lo, s76
	s_mov_b32 s17, exec_lo
	v_cmpx_gt_i32_e32 2, v3
	s_cbranch_execz .LBB6_268
; %bb.414:                              ;   in Loop: Header=BB6_269 Depth=2
	v_cmp_eq_u32_e64 s19, 0, v3
	s_mov_b32 s18, 0
	s_branch .LBB6_416
.LBB6_415:                              ;   in Loop: Header=BB6_416 Depth=3
	s_or_b32 exec_lo, exec_lo, s16
	v_add_nc_u32_e32 v103, v80, v103
	s_mov_b32 s19, 0
	s_andn2_b32 exec_lo, exec_lo, s18
	s_cbranch_execz .LBB6_267
.LBB6_416:                              ;   Parent Loop BB6_47 Depth=1
                                        ;     Parent Loop BB6_269 Depth=2
                                        ; =>    This Loop Header: Depth=3
                                        ;         Child Loop BB6_422 Depth 4
                                        ;         Child Loop BB6_450 Depth 4
	;; [unrolled: 1-line block ×3, first 2 shown]
	v_sub_nc_u32_e32 v1, v102, v103
	v_and_b32_e32 v3, 12, v112
	s_mov_b32 s20, exec_lo
	v_min_i32_e32 v80, v80, v1
	v_cmpx_ne_u32_e32 0, v3
	s_cbranch_execz .LBB6_442
; %bb.417:                              ;   in Loop: Header=BB6_416 Depth=3
	v_and_b32_e32 v3, 8, v112
	s_mov_b32 s21, exec_lo
	s_waitcnt vmcnt(0) lgkmcnt(1)
	v_add_co_u32 v10, vcc_lo, v52, v3
	v_add_co_ci_u32_e64 v11, null, 0, v53, vcc_lo
	v_add_co_u32 v8, vcc_lo, v68, 2
	v_add_co_ci_u32_e64 v9, null, 0, v69, vcc_lo
	v_cmpx_lt_u64_e64 v[10:11], v[8:9]
	s_cbranch_execz .LBB6_429
; %bb.418:                              ;   in Loop: Header=BB6_416 Depth=3
	v_and_b32_e32 v1, 64, v112
	s_mov_b32 s22, 0
	s_mov_b32 s26, 0
                                        ; implicit-def: $sgpr23
                                        ; implicit-def: $sgpr24
                                        ; implicit-def: $sgpr25
	v_cmp_eq_u32_e32 vcc_lo, 0, v1
	s_branch .LBB6_422
.LBB6_419:                              ;   in Loop: Header=BB6_422 Depth=4
	s_waitcnt vmcnt(0) lgkmcnt(0)
	v_add_co_u32 v11, s16, v52, v3
	v_add_co_ci_u32_e64 v12, null, 0, v53, s16
	s_or_b32 s76, s76, exec_lo
	v_cmp_ge_u64_e64 s16, v[11:12], v[8:9]
	s_orn2_b32 s28, s16, exec_lo
.LBB6_420:                              ;   in Loop: Header=BB6_422 Depth=4
	s_or_b32 exec_lo, exec_lo, s78
	s_andn2_b32 s16, s25, exec_lo
	s_and_b32 s25, s76, exec_lo
	s_andn2_b32 s24, s24, exec_lo
	s_and_b32 s28, s28, exec_lo
	s_or_b32 s25, s16, s25
	s_or_b32 s24, s24, s28
.LBB6_421:                              ;   in Loop: Header=BB6_422 Depth=4
	s_or_b32 exec_lo, exec_lo, s27
	s_and_b32 s16, exec_lo, s24
	s_or_b32 s22, s16, s22
	s_andn2_b32 s16, s23, exec_lo
	s_and_b32 s23, s25, exec_lo
	s_or_b32 s23, s16, s23
	s_andn2_b32 exec_lo, exec_lo, s22
	s_cbranch_execz .LBB6_426
.LBB6_422:                              ;   Parent Loop BB6_47 Depth=1
                                        ;     Parent Loop BB6_269 Depth=2
                                        ;       Parent Loop BB6_416 Depth=3
                                        ; =>      This Inner Loop Header: Depth=4
	s_sleep 1
	s_waitcnt vmcnt(0) lgkmcnt(0)
	flat_load_dwordx2 v[52:53], v[36:37] glc dlc
	s_or_b32 s25, s25, exec_lo
	s_or_b32 s24, s24, exec_lo
                                        ; implicit-def: $vgpr10
	s_and_saveexec_b32 s27, vcc_lo
	s_cbranch_execz .LBB6_421
; %bb.423:                              ;   in Loop: Header=BB6_422 Depth=4
	s_cmpk_lt_i32 s26, 0x270f
	s_mov_b32 s28, -1
	s_cselect_b32 s77, -1, 0
	s_cmpk_gt_i32 s26, 0x270e
	s_cbranch_scc0 .LBB6_425
; %bb.424:                              ;   in Loop: Header=BB6_422 Depth=4
	s_trap 2
	ds_read_b64 v[10:11], v0
	s_andn2_b32 s26, s77, exec_lo
	s_mov_b32 s76, 0
	s_waitcnt vmcnt(0) lgkmcnt(0)
	s_waitcnt_vscnt null, 0x0
	flat_load_dword v10, v[10:11] glc dlc
	s_waitcnt vmcnt(0) lgkmcnt(0)
	buffer_gl1_inv
	buffer_gl0_inv
	v_cmp_eq_u32_e64 s16, 0, v10
	s_and_b32 s16, s16, exec_lo
	s_or_b32 s77, s26, s16
	s_mov_b32 s26, 0
	s_and_saveexec_b32 s78, s77
	s_cbranch_execz .LBB6_420
	s_branch .LBB6_419
.LBB6_425:                              ;   in Loop: Header=BB6_422 Depth=4
	s_add_i32 s26, s26, 1
	s_mov_b32 s76, -1
                                        ; implicit-def: $vgpr10
	s_and_saveexec_b32 s78, s77
	s_cbranch_execz .LBB6_420
	s_branch .LBB6_419
.LBB6_426:                              ;   in Loop: Header=BB6_416 Depth=3
	s_or_b32 exec_lo, exec_lo, s22
	s_xor_b32 s16, s23, -1
	s_and_saveexec_b32 s22, s16
	s_xor_b32 s16, exec_lo, s22
	s_cbranch_execz .LBB6_428
; %bb.427:                              ;   in Loop: Header=BB6_416 Depth=3
	v_or_b32_e32 v112, 64, v112
	s_waitcnt vmcnt(0) lgkmcnt(0)
	s_waitcnt_vscnt null, 0x0
	ds_write_b32 v0, v10
	s_trap 2
.LBB6_428:                              ;   in Loop: Header=BB6_416 Depth=3
	s_or_b32 exec_lo, exec_lo, s16
.LBB6_429:                              ;   in Loop: Header=BB6_416 Depth=3
	s_or_b32 exec_lo, exec_lo, s21
	v_and_b32_e32 v1, 0x108, v112
	s_mov_b32 s16, exec_lo
	;;#ASMSTART
	s_wakeup
	;;#ASMEND
                                        ; implicit-def: $vgpr10_vgpr11
	v_cmpx_ne_u32_e32 0x108, v1
	s_xor_b32 s16, exec_lo, s16
; %bb.430:                              ;   in Loop: Header=BB6_416 Depth=3
	v_and_b32_e32 v10, 7, v68
	v_mov_b32_e32 v11, v2
                                        ; implicit-def: $vgpr68_vgpr69
; %bb.431:                              ;   in Loop: Header=BB6_416 Depth=3
	s_andn2_saveexec_b32 s16, s16
	s_cbranch_execz .LBB6_433
; %bb.432:                              ;   in Loop: Header=BB6_416 Depth=3
	v_and_b32_e32 v10, 7, v68
	v_ashrrev_i32_e32 v81, 31, v80
	v_mov_b32_e32 v11, v2
	v_mad_u64_u32 v[12:13], null, v10, 24, v[6:7]
	flat_store_dwordx2 v[12:13], v[80:81] offset:8
.LBB6_433:                              ;   in Loop: Header=BB6_416 Depth=3
	s_or_b32 exec_lo, exec_lo, s16
	v_and_b32_e32 v1, 0x100, v112
	s_mov_b32 s16, -1
	s_mov_b32 s21, exec_lo
                                        ; implicit-def: $vgpr12_vgpr13
	v_cmpx_ne_u32_e32 0, v1
	s_cbranch_execz .LBB6_437
; %bb.434:                              ;   in Loop: Header=BB6_416 Depth=3
	v_mad_u64_u32 v[14:15], null, v10, 24, v[6:7]
	s_mov_b32 s22, exec_lo
	v_mov_b32_e32 v12, v15
	v_mad_u64_u32 v[12:13], null, v11, 24, v[12:13]
	v_mov_b32_e32 v15, v12
                                        ; implicit-def: $vgpr12_vgpr13
	flat_load_dword v1, v[14:15]
	s_waitcnt vmcnt(0) lgkmcnt(0)
	v_cmp_ne_u32_e32 vcc_lo, 1, v1
	v_cmpx_eq_u32_e32 1, v1
	s_cbranch_execz .LBB6_436
; %bb.435:                              ;   in Loop: Header=BB6_416 Depth=3
	flat_load_dword v12, v[14:15] offset:4 glc dlc
	s_waitcnt vmcnt(0) lgkmcnt(0)
	v_ashrrev_i32_e32 v13, 31, v12
.LBB6_436:                              ;   in Loop: Header=BB6_416 Depth=3
	s_or_b32 exec_lo, exec_lo, s22
	s_orn2_b32 s16, vcc_lo, exec_lo
.LBB6_437:                              ;   in Loop: Header=BB6_416 Depth=3
	s_or_b32 exec_lo, exec_lo, s21
	s_and_saveexec_b32 s21, s16
; %bb.438:                              ;   in Loop: Header=BB6_416 Depth=3
	v_mul_lo_u32 v1, v11, v113
	v_mul_lo_u32 v4, v10, v114
	v_mad_u64_u32 v[12:13], null, v10, v113, 0
	v_add3_u32 v13, v13, v4, v1
; %bb.439:                              ;   in Loop: Header=BB6_416 Depth=3
	s_or_b32 exec_lo, exec_lo, s21
	v_cmp_eq_u32_e32 vcc_lo, 0, v3
	v_and_b32_e32 v3, 0x2000, v112
	s_mov_b32 s16, exec_lo
	v_cndmask_b32_e32 v1, 0xc8, v40, vcc_lo
	v_add_co_u32 v10, vcc_lo, v38, v12
	v_add_co_ci_u32_e64 v11, null, v39, v13, vcc_lo
	v_add_nc_u32_e32 v1, v0, v1
	ds_write_b64 v1, v[10:11] offset:584
	v_cmpx_ne_u32_e32 0, v3
	s_cbranch_execz .LBB6_441
; %bb.440:                              ;   in Loop: Header=BB6_416 Depth=3
	ds_read_b64 v[10:11], v0 offset:872
	s_waitcnt lgkmcnt(0)
	v_add_co_u32 v10, vcc_lo, v10, 1
	v_add_co_ci_u32_e64 v11, null, 0, v11, vcc_lo
	ds_write_b64 v0, v[10:11] offset:872
.LBB6_441:                              ;   in Loop: Header=BB6_416 Depth=3
	s_or_b32 exec_lo, exec_lo, s16
	v_mov_b32_e32 v69, v9
	v_mov_b32_e32 v68, v8
.LBB6_442:                              ;   in Loop: Header=BB6_416 Depth=3
	s_or_b32 exec_lo, exec_lo, s20
	s_xor_b32 s16, s19, -1
	s_and_b32 s16, exec_lo, s16
	s_or_b32 s18, s16, s18
	s_and_saveexec_b32 s16, s6
	s_cbranch_execz .LBB6_461
; %bb.443:                              ;   in Loop: Header=BB6_416 Depth=3
	s_and_saveexec_b32 s19, s46
	s_xor_b32 s19, exec_lo, s19
	s_cbranch_execz .LBB6_458
; %bb.444:                              ;   in Loop: Header=BB6_416 Depth=3
	s_and_saveexec_b32 s20, s11
	s_cbranch_execz .LBB6_457
; %bb.445:                              ;   in Loop: Header=BB6_416 Depth=3
	s_mov_b32 s22, exec_lo
	s_mov_b32 s21, exec_lo
	v_mbcnt_lo_u32_b32 v1, s22, 0
	s_waitcnt vmcnt(0) lgkmcnt(0)
	s_waitcnt_vscnt null, 0x0
	buffer_gl1_inv
	buffer_gl0_inv
	v_cmpx_eq_u32_e32 0, v1
	s_cbranch_execz .LBB6_447
; %bb.446:                              ;   in Loop: Header=BB6_416 Depth=3
	s_bcnt1_i32_b32 s22, s22
	v_mov_b32_e32 v9, v2
	v_mov_b32_e32 v8, s22
	ds_add_u64 v0, v[8:9]
	s_trap 2
.LBB6_447:                              ;   in Loop: Header=BB6_416 Depth=3
	s_or_b32 exec_lo, exec_lo, s21
	s_trap 2
	ds_read_b64 v[8:9], v0
	s_waitcnt lgkmcnt(0)
	buffer_gl0_inv
	v_add_co_u32 v50, vcc_lo, v50, v115
	v_add_co_ci_u32_e64 v51, null, 0, v51, vcc_lo
	s_mov_b32 s21, exec_lo
	v_cmpx_lt_u64_e64 v[8:9], v[50:51]
	s_cbranch_execz .LBB6_456
; %bb.448:                              ;   in Loop: Header=BB6_416 Depth=3
	s_mov_b32 s22, 0
	s_mov_b32 s25, 0
                                        ; implicit-def: $sgpr23
                                        ; implicit-def: $sgpr24
	s_inst_prefetch 0x1
	s_branch .LBB6_450
	.p2align	6
.LBB6_449:                              ;   in Loop: Header=BB6_450 Depth=4
	s_or_b32 exec_lo, exec_lo, s27
	s_and_b32 s26, exec_lo, s28
	s_or_b32 s22, s26, s22
	s_andn2_b32 s23, s23, exec_lo
	s_and_b32 s26, s24, exec_lo
	s_or_b32 s23, s23, s26
	s_andn2_b32 exec_lo, exec_lo, s22
	s_cbranch_execz .LBB6_454
.LBB6_450:                              ;   Parent Loop BB6_47 Depth=1
                                        ;     Parent Loop BB6_269 Depth=2
                                        ;       Parent Loop BB6_416 Depth=3
                                        ; =>      This Inner Loop Header: Depth=4
	s_add_i32 s25, s25, 1
	s_cmpk_lg_i32 s25, 0x2710
	s_cselect_b32 s26, -1, 0
	s_and_b32 vcc_lo, exec_lo, s26
	s_cbranch_vccz .LBB6_452
; %bb.451:                              ;   in Loop: Header=BB6_450 Depth=4
	s_mov_b32 s28, -1
	s_or_b32 s24, s24, exec_lo
	s_and_saveexec_b32 s27, s26
	s_cbranch_execz .LBB6_449
	s_branch .LBB6_453
	.p2align	6
.LBB6_452:                              ;   in Loop: Header=BB6_450 Depth=4
	s_trap 2
	ds_read_b64 v[8:9], v0
	s_andn2_b32 s26, s26, exec_lo
	s_mov_b32 s25, 0
	s_waitcnt lgkmcnt(0)
	flat_load_dword v1, v[8:9] glc dlc
	s_waitcnt vmcnt(0) lgkmcnt(0)
	buffer_gl1_inv
	buffer_gl0_inv
	v_cmp_eq_u32_e32 vcc_lo, 0, v1
	s_and_b32 s27, vcc_lo, exec_lo
	s_or_b32 s26, s26, s27
	s_mov_b32 s28, -1
	s_or_b32 s24, s24, exec_lo
	s_and_saveexec_b32 s27, s26
	s_cbranch_execz .LBB6_449
.LBB6_453:                              ;   in Loop: Header=BB6_450 Depth=4
	s_sleep 1
	s_trap 2
	ds_read_b64 v[8:9], v0
	s_waitcnt lgkmcnt(0)
	buffer_gl0_inv
	s_andn2_b32 s24, s24, exec_lo
	v_cmp_ge_u64_e32 vcc_lo, v[8:9], v[50:51]
	s_orn2_b32 s28, vcc_lo, exec_lo
	s_branch .LBB6_449
.LBB6_454:                              ;   in Loop: Header=BB6_416 Depth=3
	s_inst_prefetch 0x2
	s_or_b32 exec_lo, exec_lo, s22
	s_and_saveexec_b32 s22, s23
	s_xor_b32 s22, exec_lo, s22
	s_cbranch_execz .LBB6_456
; %bb.455:                              ;   in Loop: Header=BB6_416 Depth=3
	ds_write_b32 v0, v119
	s_trap 2
.LBB6_456:                              ;   in Loop: Header=BB6_416 Depth=3
	s_or_b32 exec_lo, exec_lo, s21
	;;#ASMSTART
	s_wakeup
	;;#ASMEND
.LBB6_457:                              ;   in Loop: Header=BB6_416 Depth=3
	s_or_b32 exec_lo, exec_lo, s20
.LBB6_458:                              ;   in Loop: Header=BB6_416 Depth=3
	s_andn2_saveexec_b32 s19, s19
	s_cbranch_execz .LBB6_460
; %bb.459:                              ;   in Loop: Header=BB6_416 Depth=3
	s_waitcnt vmcnt(0) lgkmcnt(0)
	s_waitcnt_vscnt null, 0x0
	buffer_gl1_inv
	buffer_gl0_inv
	s_barrier
.LBB6_460:                              ;   in Loop: Header=BB6_416 Depth=3
	s_or_b32 exec_lo, exec_lo, s19
.LBB6_461:                              ;   in Loop: Header=BB6_416 Depth=3
	s_or_b32 exec_lo, exec_lo, s16
                                        ; implicit-def: $vgpr3
	s_and_saveexec_b32 s16, s62
	s_xor_b32 s16, exec_lo, s16
	s_cbranch_execz .LBB6_473
; %bb.462:                              ;   in Loop: Header=BB6_416 Depth=3
	s_and_saveexec_b32 s19, s46
	s_xor_b32 s19, exec_lo, s19
	s_cbranch_execz .LBB6_478
; %bb.463:                              ;   in Loop: Header=BB6_416 Depth=3
	s_and_saveexec_b32 s20, s11
	s_cbranch_execz .LBB6_477
; %bb.464:                              ;   in Loop: Header=BB6_416 Depth=3
	s_mov_b32 s22, exec_lo
	s_mov_b32 s21, exec_lo
	v_mbcnt_lo_u32_b32 v1, s22, 0
	;;#ASMSTART
	s_waitcnt lgkmcnt(0) vmcnt(0)
	;;#ASMEND
	v_cmpx_eq_u32_e32 0, v1
	s_cbranch_execz .LBB6_466
; %bb.465:                              ;   in Loop: Header=BB6_416 Depth=3
	s_bcnt1_i32_b32 s22, s22
	v_mov_b32_e32 v9, v2
	v_mov_b32_e32 v8, s22
	s_waitcnt vmcnt(0) lgkmcnt(0)
	s_waitcnt_vscnt null, 0x0
	ds_add_u64 v0, v[8:9]
	s_trap 2
.LBB6_466:                              ;   in Loop: Header=BB6_416 Depth=3
	s_or_b32 exec_lo, exec_lo, s21
	s_trap 2
	ds_read_b64 v[8:9], v0
	s_waitcnt vmcnt(0) lgkmcnt(0)
	buffer_gl0_inv
	v_add_co_u32 v50, vcc_lo, v50, v115
	v_add_co_ci_u32_e64 v51, null, 0, v51, vcc_lo
	s_mov_b32 s21, exec_lo
	v_cmpx_lt_u64_e64 v[8:9], v[50:51]
	s_cbranch_execz .LBB6_476
; %bb.467:                              ;   in Loop: Header=BB6_416 Depth=3
	s_mov_b32 s22, 0
	s_mov_b32 s25, 0
                                        ; implicit-def: $sgpr23
                                        ; implicit-def: $sgpr24
	s_inst_prefetch 0x1
	s_branch .LBB6_469
	.p2align	6
.LBB6_468:                              ;   in Loop: Header=BB6_469 Depth=4
	s_or_b32 exec_lo, exec_lo, s27
	s_and_b32 s26, exec_lo, s28
	s_or_b32 s22, s26, s22
	s_andn2_b32 s23, s23, exec_lo
	s_and_b32 s26, s24, exec_lo
	s_or_b32 s23, s23, s26
	s_andn2_b32 exec_lo, exec_lo, s22
	s_cbranch_execz .LBB6_474
.LBB6_469:                              ;   Parent Loop BB6_47 Depth=1
                                        ;     Parent Loop BB6_269 Depth=2
                                        ;       Parent Loop BB6_416 Depth=3
                                        ; =>      This Inner Loop Header: Depth=4
	s_add_i32 s25, s25, 1
	s_cmpk_lg_i32 s25, 0x2710
	s_cselect_b32 s26, -1, 0
	s_and_b32 vcc_lo, exec_lo, s26
	s_cbranch_vccz .LBB6_471
; %bb.470:                              ;   in Loop: Header=BB6_469 Depth=4
	s_mov_b32 s28, -1
	s_or_b32 s24, s24, exec_lo
	s_and_saveexec_b32 s27, s26
	s_cbranch_execz .LBB6_468
	s_branch .LBB6_472
	.p2align	6
.LBB6_471:                              ;   in Loop: Header=BB6_469 Depth=4
	s_trap 2
	ds_read_b64 v[8:9], v0
	s_andn2_b32 s26, s26, exec_lo
	s_mov_b32 s25, 0
	s_waitcnt lgkmcnt(0)
	s_waitcnt_vscnt null, 0x0
	flat_load_dword v1, v[8:9] glc dlc
	s_waitcnt vmcnt(0) lgkmcnt(0)
	buffer_gl1_inv
	buffer_gl0_inv
	v_cmp_eq_u32_e32 vcc_lo, 0, v1
	s_and_b32 s27, vcc_lo, exec_lo
	s_or_b32 s26, s26, s27
	s_mov_b32 s28, -1
	s_or_b32 s24, s24, exec_lo
	s_and_saveexec_b32 s27, s26
	s_cbranch_execz .LBB6_468
.LBB6_472:                              ;   in Loop: Header=BB6_469 Depth=4
	s_sleep 1
	s_trap 2
	ds_read_b64 v[8:9], v0
	s_waitcnt lgkmcnt(0)
	buffer_gl0_inv
	s_andn2_b32 s24, s24, exec_lo
	v_cmp_ge_u64_e32 vcc_lo, v[8:9], v[50:51]
	s_orn2_b32 s28, vcc_lo, exec_lo
	s_branch .LBB6_468
.LBB6_473:                              ;   in Loop: Header=BB6_416 Depth=3
	s_andn2_saveexec_b32 s19, s16
	s_cbranch_execnz .LBB6_481
	s_branch .LBB6_484
.LBB6_474:                              ;   in Loop: Header=BB6_416 Depth=3
	s_inst_prefetch 0x2
	s_or_b32 exec_lo, exec_lo, s22
	s_and_saveexec_b32 s22, s23
	s_xor_b32 s22, exec_lo, s22
	s_cbranch_execz .LBB6_476
; %bb.475:                              ;   in Loop: Header=BB6_416 Depth=3
	ds_write_b32 v0, v119
	s_trap 2
.LBB6_476:                              ;   in Loop: Header=BB6_416 Depth=3
	s_or_b32 exec_lo, exec_lo, s21
	;;#ASMSTART
	s_wakeup
	;;#ASMEND
.LBB6_477:                              ;   in Loop: Header=BB6_416 Depth=3
	s_or_b32 exec_lo, exec_lo, s20
.LBB6_478:                              ;   in Loop: Header=BB6_416 Depth=3
	s_andn2_saveexec_b32 s19, s19
	s_cbranch_execz .LBB6_480
; %bb.479:                              ;   in Loop: Header=BB6_416 Depth=3
	;;#ASMSTART
	s_waitcnt lgkmcnt(0) vmcnt(0)
	;;#ASMEND
	s_barrier
.LBB6_480:                              ;   in Loop: Header=BB6_416 Depth=3
	s_or_b32 exec_lo, exec_lo, s19
	v_and_b32_e32 v3, 16, v112
	s_andn2_saveexec_b32 s19, s16
	s_cbranch_execz .LBB6_484
.LBB6_481:                              ;   in Loop: Header=BB6_416 Depth=3
	s_trap 2
	ds_read_b32 v1, v0
	v_cmp_lt_i32_e32 vcc_lo, 0, v80
	v_and_b32_e32 v3, 16, v112
	s_waitcnt lgkmcnt(0)
	v_readfirstlane_b32 s16, v1
	v_and_b32_e32 v1, 16, v112
	s_cmp_eq_u32 s16, 0
	v_cmp_ne_u32_e64 s16, 0, v1
	s_cselect_b32 s20, -1, 0
	s_and_b32 s20, vcc_lo, s20
	s_and_b32 s20, s16, s20
	s_and_saveexec_b32 s16, s20
	s_cbranch_execz .LBB6_483
; %bb.482:                              ;   in Loop: Header=BB6_416 Depth=3
	v_mov_b32_e32 v3, 1
	s_waitcnt vmcnt(0)
	s_waitcnt_vscnt null, 0x0
	buffer_gl1_inv
	buffer_gl0_inv
.LBB6_483:                              ;   in Loop: Header=BB6_416 Depth=3
	s_or_b32 exec_lo, exec_lo, s16
.LBB6_484:                              ;   in Loop: Header=BB6_416 Depth=3
	s_or_b32 exec_lo, exec_lo, s19
	v_cmp_ne_u32_e32 vcc_lo, 0, v3
	s_xor_b32 s16, s7, -1
	s_and_b32 s19, vcc_lo, s16
	s_and_saveexec_b32 s16, s19
	s_cbranch_execz .LBB6_486
; %bb.485:                              ;   in Loop: Header=BB6_416 Depth=3
	s_waitcnt vmcnt(0) lgkmcnt(0)
	s_waitcnt_vscnt null, 0x0
	flat_store_dword v[48:49], v119
.LBB6_486:                              ;   in Loop: Header=BB6_416 Depth=3
	s_or_b32 exec_lo, exec_lo, s16
	v_and_b32_e32 v1, 48, v112
	s_mov_b32 s16, exec_lo
	v_cmpx_ne_u32_e32 0, v1
	s_cbranch_execz .LBB6_415
; %bb.487:                              ;   in Loop: Header=BB6_416 Depth=3
	v_add_co_u32 v68, vcc_lo, v68, 2
	v_add_co_ci_u32_e64 v69, null, 0, v69, vcc_lo
	s_waitcnt vmcnt(0) lgkmcnt(0)
	s_waitcnt_vscnt null, 0x0
	flat_store_dwordx2 v[36:37], v[68:69]
	s_branch .LBB6_415
.LBB6_488:                              ;   in Loop: Header=BB6_47 Depth=1
	v_mul_lo_u32 v3, v67, s42
	v_mul_lo_u32 v10, v66, s45
	v_mad_u64_u32 v[8:9], null, v66, s42, 0
	v_mov_b32_e32 v87, 0
	v_add3_u32 v9, v9, v10, v3
	s_clause 0x1
	buffer_load_dword v3, off, s[0:3], s33 offset:188
	buffer_load_dword v4, off, s[0:3], s33 offset:192
	s_waitcnt vmcnt(1)
	v_sub_co_u32 v10, vcc_lo, v3, v8
	s_waitcnt vmcnt(0)
	v_sub_co_ci_u32_e64 v11, null, v4, v9, vcc_lo
	v_cmp_lt_i64_e32 vcc_lo, v[66:67], v[10:11]
	v_cndmask_b32_e32 v11, v10, v66, vcc_lo
	v_max_i32_e32 v3, 0, v11
	v_cmp_lt_i32_e32 vcc_lo, 0, v11
	v_add_nc_u32_e32 v10, 31, v3
	s_and_b32 s16, s72, vcc_lo
	v_lshrrev_b32_e32 v10, 1, v10
	v_and_b32_e32 v12, 0x3ffffff0, v10
	v_mov_b32_e32 v10, 0
	v_max_i32_e32 v80, s60, v12
	s_and_saveexec_b32 s41, s16
	s_cbranch_execz .LBB6_665
; %bb.489:                              ;   in Loop: Header=BB6_47 Depth=1
	v_add_co_u32 v70, vcc_lo, v8, v72
	v_add_co_ci_u32_e64 v71, null, v9, v73, vcc_lo
	v_mov_b32_e32 v87, 0
	s_mov_b32 s78, 1
	s_mov_b32 s77, -1
	s_mov_b32 s76, 0
	buffer_store_dword v70, off, s[0:3], s33 offset:220 ; 4-byte Folded Spill
	buffer_store_dword v71, off, s[0:3], s33 offset:224 ; 4-byte Folded Spill
	s_branch .LBB6_491
.LBB6_490:                              ;   in Loop: Header=BB6_491 Depth=2
	s_or_b32 exec_lo, exec_lo, s16
	v_add_nc_u32_e32 v87, v80, v87
	s_xor_b32 s16, s77, -1
	v_mov_b32_e32 v10, s78
	s_mov_b32 s77, 0
	s_mov_b32 s78, 2
	v_cmp_ge_i32_e32 vcc_lo, v87, v3
	s_or_b32 s16, s16, vcc_lo
	s_and_b32 s16, exec_lo, s16
	s_or_b32 s76, s16, s76
	s_andn2_b32 exec_lo, exec_lo, s76
	s_cbranch_execz .LBB6_664
.LBB6_491:                              ;   Parent Loop BB6_47 Depth=1
                                        ; =>  This Loop Header: Depth=2
                                        ;       Child Loop BB6_499 Depth 3
                                        ;       Child Loop BB6_527 Depth 3
	;; [unrolled: 1-line block ×5, first 2 shown]
                                        ;         Child Loop BB6_579 Depth 4
                                        ;       Child Loop BB6_586 Depth 3
                                        ;       Child Loop BB6_591 Depth 3
                                        ;         Child Loop BB6_592 Depth 4
                                        ;       Child Loop BB6_604 Depth 3
                                        ;       Child Loop BB6_609 Depth 3
	;; [unrolled: 1-line block ×6, first 2 shown]
	s_and_saveexec_b32 s17, s4
	s_cbranch_execz .LBB6_493
; %bb.492:                              ;   in Loop: Header=BB6_491 Depth=2
	s_trap 2
	ds_read2_b64 v[8:11], v0 offset1:1
	ds_read_b64 v[12:13], v0
	v_ashrrev_i32_e32 v14, 31, v87
	s_waitcnt lgkmcnt(1)
	v_add_co_u32 v8, vcc_lo, v8, v70
	v_add_co_ci_u32_e64 v9, null, v9, v71, vcc_lo
	v_add_co_u32 v10, vcc_lo, v10, v70
	v_add_co_ci_u32_e64 v11, null, v11, v71, vcc_lo
	s_waitcnt lgkmcnt(0)
	v_add_co_u32 v15, vcc_lo, v12, v70
	v_add_co_ci_u32_e64 v16, null, v13, v71, vcc_lo
	v_add_co_u32 v8, vcc_lo, v8, v87
	v_add_co_ci_u32_e64 v9, null, v9, v14, vcc_lo
	;; [unrolled: 2-line block ×3, first 2 shown]
	v_cmp_ne_u64_e32 vcc_lo, 0, v[12:13]
	v_add_co_u32 v10, s16, v10, v87
	v_add_co_ci_u32_e64 v11, null, v11, v14, s16
	v_cndmask_b32_e32 v13, 0, v16, vcc_lo
	v_cndmask_b32_e32 v12, 0, v15, vcc_lo
	ds_write_b64 v0, v[8:9]
	ds_write_b64 v0, v[10:11]
	;; [unrolled: 1-line block ×3, first 2 shown]
.LBB6_493:                              ;   in Loop: Header=BB6_491 Depth=2
	s_or_b32 exec_lo, exec_lo, s17
	v_sub_nc_u32_e32 v8, v3, v87
	v_and_b32_e32 v9, 12, v112
	s_mov_b32 s17, exec_lo
	v_min_i32_e32 v80, v80, v8
	v_cmpx_ne_u32_e32 0, v9
	s_cbranch_execz .LBB6_519
; %bb.494:                              ;   in Loop: Header=BB6_491 Depth=2
	v_and_b32_e32 v16, 8, v112
	s_mov_b32 s18, exec_lo
	s_waitcnt vmcnt(0) lgkmcnt(1)
	v_add_co_u32 v10, vcc_lo, v52, v16
	v_add_co_ci_u32_e64 v11, null, 0, v53, vcc_lo
	v_add_co_u32 v8, vcc_lo, v68, 2
	v_add_co_ci_u32_e64 v9, null, 0, v69, vcc_lo
	v_cmpx_lt_u64_e64 v[10:11], v[8:9]
	s_cbranch_execz .LBB6_506
; %bb.495:                              ;   in Loop: Header=BB6_491 Depth=2
	v_and_b32_e32 v10, 64, v112
	s_mov_b32 s19, 0
	s_mov_b32 s23, 0
                                        ; implicit-def: $sgpr20
                                        ; implicit-def: $sgpr21
                                        ; implicit-def: $sgpr22
	v_cmp_eq_u32_e32 vcc_lo, 0, v10
	s_branch .LBB6_499
.LBB6_496:                              ;   in Loop: Header=BB6_499 Depth=3
	s_waitcnt vmcnt(0) lgkmcnt(0)
	v_add_co_u32 v11, s16, v52, v16
	v_add_co_ci_u32_e64 v12, null, 0, v53, s16
	s_or_b32 s26, s26, exec_lo
	v_cmp_ge_u64_e64 s16, v[11:12], v[8:9]
	s_orn2_b32 s25, s16, exec_lo
.LBB6_497:                              ;   in Loop: Header=BB6_499 Depth=3
	s_or_b32 exec_lo, exec_lo, s28
	s_andn2_b32 s16, s22, exec_lo
	s_and_b32 s22, s26, exec_lo
	s_andn2_b32 s21, s21, exec_lo
	s_and_b32 s25, s25, exec_lo
	s_or_b32 s22, s16, s22
	s_or_b32 s21, s21, s25
.LBB6_498:                              ;   in Loop: Header=BB6_499 Depth=3
	s_or_b32 exec_lo, exec_lo, s24
	s_and_b32 s16, exec_lo, s21
	s_or_b32 s19, s16, s19
	s_andn2_b32 s16, s20, exec_lo
	s_and_b32 s20, s22, exec_lo
	s_or_b32 s20, s16, s20
	s_andn2_b32 exec_lo, exec_lo, s19
	s_cbranch_execz .LBB6_503
.LBB6_499:                              ;   Parent Loop BB6_47 Depth=1
                                        ;     Parent Loop BB6_491 Depth=2
                                        ; =>    This Inner Loop Header: Depth=3
	s_sleep 1
	s_waitcnt vmcnt(0) lgkmcnt(0)
	flat_load_dwordx2 v[52:53], v[36:37] glc dlc
	s_or_b32 s22, s22, exec_lo
	s_or_b32 s21, s21, exec_lo
                                        ; implicit-def: $vgpr10
	s_and_saveexec_b32 s24, vcc_lo
	s_cbranch_execz .LBB6_498
; %bb.500:                              ;   in Loop: Header=BB6_499 Depth=3
	s_cmpk_lt_i32 s23, 0x270f
	s_mov_b32 s25, -1
	s_cselect_b32 s27, -1, 0
	s_cmpk_gt_i32 s23, 0x270e
	s_cbranch_scc0 .LBB6_502
; %bb.501:                              ;   in Loop: Header=BB6_499 Depth=3
	s_trap 2
	ds_read_b64 v[10:11], v0
	s_andn2_b32 s23, s27, exec_lo
	s_mov_b32 s26, 0
	s_waitcnt vmcnt(0) lgkmcnt(0)
	s_waitcnt_vscnt null, 0x0
	flat_load_dword v10, v[10:11] glc dlc
	s_waitcnt vmcnt(0) lgkmcnt(0)
	buffer_gl1_inv
	buffer_gl0_inv
	v_cmp_eq_u32_e64 s16, 0, v10
	s_and_b32 s16, s16, exec_lo
	s_or_b32 s27, s23, s16
	s_mov_b32 s23, 0
	s_and_saveexec_b32 s28, s27
	s_cbranch_execz .LBB6_497
	s_branch .LBB6_496
.LBB6_502:                              ;   in Loop: Header=BB6_499 Depth=3
	s_add_i32 s23, s23, 1
	s_mov_b32 s26, -1
                                        ; implicit-def: $vgpr10
	s_and_saveexec_b32 s28, s27
	s_cbranch_execz .LBB6_497
	s_branch .LBB6_496
.LBB6_503:                              ;   in Loop: Header=BB6_491 Depth=2
	s_or_b32 exec_lo, exec_lo, s19
	s_xor_b32 s16, s20, -1
	s_and_saveexec_b32 s19, s16
	s_xor_b32 s16, exec_lo, s19
	s_cbranch_execz .LBB6_505
; %bb.504:                              ;   in Loop: Header=BB6_491 Depth=2
	v_or_b32_e32 v112, 64, v112
	s_waitcnt vmcnt(0) lgkmcnt(0)
	s_waitcnt_vscnt null, 0x0
	ds_write_b32 v0, v10
	s_trap 2
.LBB6_505:                              ;   in Loop: Header=BB6_491 Depth=2
	s_or_b32 exec_lo, exec_lo, s16
.LBB6_506:                              ;   in Loop: Header=BB6_491 Depth=2
	s_or_b32 exec_lo, exec_lo, s18
	v_and_b32_e32 v10, 0x108, v112
	;;#ASMSTART
	s_wakeup
	;;#ASMEND
	v_cmp_ne_u32_e32 vcc_lo, 0x108, v10
                                        ; implicit-def: $vgpr10_vgpr11
	s_and_saveexec_b32 s16, vcc_lo
	s_xor_b32 s16, exec_lo, s16
; %bb.507:                              ;   in Loop: Header=BB6_491 Depth=2
	v_and_b32_e32 v10, 7, v68
	v_mov_b32_e32 v11, v2
                                        ; implicit-def: $vgpr68_vgpr69
; %bb.508:                              ;   in Loop: Header=BB6_491 Depth=2
	s_andn2_saveexec_b32 s16, s16
	s_cbranch_execz .LBB6_510
; %bb.509:                              ;   in Loop: Header=BB6_491 Depth=2
	v_and_b32_e32 v10, 7, v68
	v_ashrrev_i32_e32 v81, 31, v80
	v_mov_b32_e32 v11, v2
	v_mad_u64_u32 v[12:13], null, v10, 24, v[6:7]
	flat_store_dwordx2 v[12:13], v[80:81] offset:8
.LBB6_510:                              ;   in Loop: Header=BB6_491 Depth=2
	s_or_b32 exec_lo, exec_lo, s16
	v_and_b32_e32 v12, 0x100, v112
	s_mov_b32 s16, -1
	v_cmp_ne_u32_e32 vcc_lo, 0, v12
                                        ; implicit-def: $vgpr12_vgpr13
	s_and_saveexec_b32 s18, vcc_lo
	s_cbranch_execz .LBB6_514
; %bb.511:                              ;   in Loop: Header=BB6_491 Depth=2
	v_mad_u64_u32 v[14:15], null, v10, 24, v[6:7]
	v_mov_b32_e32 v12, v15
	v_mad_u64_u32 v[12:13], null, v11, 24, v[12:13]
	v_mov_b32_e32 v15, v12
	flat_load_dword v12, v[14:15]
	s_waitcnt vmcnt(0) lgkmcnt(0)
	v_cmp_eq_u32_e64 s16, 1, v12
	v_cmp_ne_u32_e32 vcc_lo, 1, v12
                                        ; implicit-def: $vgpr12_vgpr13
	s_and_saveexec_b32 s19, s16
	s_cbranch_execz .LBB6_513
; %bb.512:                              ;   in Loop: Header=BB6_491 Depth=2
	flat_load_dword v12, v[14:15] offset:4 glc dlc
	s_waitcnt vmcnt(0) lgkmcnt(0)
	v_ashrrev_i32_e32 v13, 31, v12
.LBB6_513:                              ;   in Loop: Header=BB6_491 Depth=2
	s_or_b32 exec_lo, exec_lo, s19
	s_orn2_b32 s16, vcc_lo, exec_lo
.LBB6_514:                              ;   in Loop: Header=BB6_491 Depth=2
	s_or_b32 exec_lo, exec_lo, s18
	s_and_saveexec_b32 s18, s16
; %bb.515:                              ;   in Loop: Header=BB6_491 Depth=2
	v_mul_lo_u32 v11, v11, v113
	v_mul_lo_u32 v14, v10, v114
	v_mad_u64_u32 v[12:13], null, v10, v113, 0
	v_add3_u32 v13, v13, v14, v11
; %bb.516:                              ;   in Loop: Header=BB6_491 Depth=2
	s_or_b32 exec_lo, exec_lo, s18
	v_cmp_eq_u32_e32 vcc_lo, 0, v16
	v_and_b32_e32 v15, 0x2000, v112
	s_mov_b32 s16, exec_lo
	v_cndmask_b32_e32 v14, 0xd0, v40, vcc_lo
	v_add_co_u32 v10, vcc_lo, v38, v12
	v_add_co_ci_u32_e64 v11, null, v39, v13, vcc_lo
	v_add_nc_u32_e32 v12, v0, v14
	ds_write_b64 v12, v[10:11] offset:584
	v_cmpx_ne_u32_e32 0, v15
	s_cbranch_execz .LBB6_518
; %bb.517:                              ;   in Loop: Header=BB6_491 Depth=2
	ds_read_b64 v[10:11], v0 offset:872
	s_waitcnt lgkmcnt(0)
	v_add_co_u32 v10, vcc_lo, v10, 1
	v_add_co_ci_u32_e64 v11, null, 0, v11, vcc_lo
	ds_write_b64 v0, v[10:11] offset:872
.LBB6_518:                              ;   in Loop: Header=BB6_491 Depth=2
	s_or_b32 exec_lo, exec_lo, s16
	v_mov_b32_e32 v69, v9
	v_mov_b32_e32 v68, v8
.LBB6_519:                              ;   in Loop: Header=BB6_491 Depth=2
	s_or_b32 exec_lo, exec_lo, s17
	s_and_saveexec_b32 s16, s6
	s_cbranch_execz .LBB6_538
; %bb.520:                              ;   in Loop: Header=BB6_491 Depth=2
	s_and_saveexec_b32 s17, s46
	s_xor_b32 s17, exec_lo, s17
	s_cbranch_execz .LBB6_535
; %bb.521:                              ;   in Loop: Header=BB6_491 Depth=2
	s_and_saveexec_b32 s18, s11
	s_cbranch_execz .LBB6_534
; %bb.522:                              ;   in Loop: Header=BB6_491 Depth=2
	s_mov_b32 s20, exec_lo
	s_mov_b32 s19, exec_lo
	v_mbcnt_lo_u32_b32 v8, s20, 0
	s_waitcnt vmcnt(0) lgkmcnt(0)
	s_waitcnt_vscnt null, 0x0
	buffer_gl1_inv
	buffer_gl0_inv
	v_cmpx_eq_u32_e32 0, v8
	s_cbranch_execz .LBB6_524
; %bb.523:                              ;   in Loop: Header=BB6_491 Depth=2
	s_bcnt1_i32_b32 s20, s20
	v_mov_b32_e32 v9, v2
	v_mov_b32_e32 v8, s20
	ds_add_u64 v0, v[8:9]
	s_trap 2
.LBB6_524:                              ;   in Loop: Header=BB6_491 Depth=2
	s_or_b32 exec_lo, exec_lo, s19
	s_trap 2
	ds_read_b64 v[8:9], v0
	s_waitcnt lgkmcnt(0)
	buffer_gl0_inv
	v_add_co_u32 v50, vcc_lo, v50, v115
	v_add_co_ci_u32_e64 v51, null, 0, v51, vcc_lo
	s_mov_b32 s19, exec_lo
	v_cmpx_lt_u64_e64 v[8:9], v[50:51]
	s_cbranch_execz .LBB6_533
; %bb.525:                              ;   in Loop: Header=BB6_491 Depth=2
	s_mov_b32 s20, 0
	s_mov_b32 s23, 0
                                        ; implicit-def: $sgpr21
                                        ; implicit-def: $sgpr22
	s_inst_prefetch 0x1
	s_branch .LBB6_527
	.p2align	6
.LBB6_526:                              ;   in Loop: Header=BB6_527 Depth=3
	s_or_b32 exec_lo, exec_lo, s25
	s_and_b32 s24, exec_lo, s26
	s_or_b32 s20, s24, s20
	s_andn2_b32 s21, s21, exec_lo
	s_and_b32 s24, s22, exec_lo
	s_or_b32 s21, s21, s24
	s_andn2_b32 exec_lo, exec_lo, s20
	s_cbranch_execz .LBB6_531
.LBB6_527:                              ;   Parent Loop BB6_47 Depth=1
                                        ;     Parent Loop BB6_491 Depth=2
                                        ; =>    This Inner Loop Header: Depth=3
	s_add_i32 s23, s23, 1
	s_cmpk_lg_i32 s23, 0x2710
	s_cselect_b32 s24, -1, 0
	s_and_b32 vcc_lo, exec_lo, s24
	s_cbranch_vccz .LBB6_529
; %bb.528:                              ;   in Loop: Header=BB6_527 Depth=3
	s_mov_b32 s26, -1
	s_or_b32 s22, s22, exec_lo
	s_and_saveexec_b32 s25, s24
	s_cbranch_execz .LBB6_526
	s_branch .LBB6_530
	.p2align	6
.LBB6_529:                              ;   in Loop: Header=BB6_527 Depth=3
	s_trap 2
	ds_read_b64 v[8:9], v0
	s_andn2_b32 s24, s24, exec_lo
	s_mov_b32 s23, 0
	s_waitcnt lgkmcnt(0)
	flat_load_dword v8, v[8:9] glc dlc
	s_waitcnt vmcnt(0) lgkmcnt(0)
	buffer_gl1_inv
	buffer_gl0_inv
	v_cmp_eq_u32_e32 vcc_lo, 0, v8
	s_and_b32 s25, vcc_lo, exec_lo
	s_or_b32 s24, s24, s25
	s_mov_b32 s26, -1
	s_or_b32 s22, s22, exec_lo
	s_and_saveexec_b32 s25, s24
	s_cbranch_execz .LBB6_526
.LBB6_530:                              ;   in Loop: Header=BB6_527 Depth=3
	s_sleep 1
	s_trap 2
	ds_read_b64 v[8:9], v0
	s_waitcnt lgkmcnt(0)
	buffer_gl0_inv
	s_andn2_b32 s22, s22, exec_lo
	v_cmp_ge_u64_e32 vcc_lo, v[8:9], v[50:51]
	s_orn2_b32 s26, vcc_lo, exec_lo
	s_branch .LBB6_526
.LBB6_531:                              ;   in Loop: Header=BB6_491 Depth=2
	s_inst_prefetch 0x2
	s_or_b32 exec_lo, exec_lo, s20
	s_and_saveexec_b32 s20, s21
	s_xor_b32 s20, exec_lo, s20
	s_cbranch_execz .LBB6_533
; %bb.532:                              ;   in Loop: Header=BB6_491 Depth=2
	ds_write_b32 v0, v119
	s_trap 2
.LBB6_533:                              ;   in Loop: Header=BB6_491 Depth=2
	s_or_b32 exec_lo, exec_lo, s19
	;;#ASMSTART
	s_wakeup
	;;#ASMEND
.LBB6_534:                              ;   in Loop: Header=BB6_491 Depth=2
	s_or_b32 exec_lo, exec_lo, s18
.LBB6_535:                              ;   in Loop: Header=BB6_491 Depth=2
	s_andn2_saveexec_b32 s17, s17
	s_cbranch_execz .LBB6_537
; %bb.536:                              ;   in Loop: Header=BB6_491 Depth=2
	s_waitcnt vmcnt(0) lgkmcnt(0)
	s_waitcnt_vscnt null, 0x0
	buffer_gl1_inv
	buffer_gl0_inv
	s_barrier
.LBB6_537:                              ;   in Loop: Header=BB6_491 Depth=2
	s_or_b32 exec_lo, exec_lo, s17
.LBB6_538:                              ;   in Loop: Header=BB6_491 Depth=2
	s_or_b32 exec_lo, exec_lo, s16
	s_trap 2
	ds_read_b32 v8, v0
	v_and_b32_e32 v9, 0x4000, v112
	s_xor_b32 s16, s5, -1
	v_cmp_ne_u32_e32 vcc_lo, 0, v9
	s_and_b32 s17, s16, vcc_lo
	s_and_saveexec_b32 s16, s17
	s_cbranch_execz .LBB6_557
; %bb.539:                              ;   in Loop: Header=BB6_491 Depth=2
	s_and_saveexec_b32 s17, s46
	s_xor_b32 s17, exec_lo, s17
	s_cbranch_execz .LBB6_554
; %bb.540:                              ;   in Loop: Header=BB6_491 Depth=2
	s_and_saveexec_b32 s18, s11
	s_cbranch_execz .LBB6_553
; %bb.541:                              ;   in Loop: Header=BB6_491 Depth=2
	s_mov_b32 s20, exec_lo
	s_mov_b32 s19, exec_lo
	v_mbcnt_lo_u32_b32 v9, s20, 0
	s_waitcnt vmcnt(0) lgkmcnt(0)
	s_waitcnt_vscnt null, 0x0
	buffer_gl1_inv
	buffer_gl0_inv
	v_cmpx_eq_u32_e32 0, v9
	s_cbranch_execz .LBB6_543
; %bb.542:                              ;   in Loop: Header=BB6_491 Depth=2
	s_bcnt1_i32_b32 s20, s20
	v_mov_b32_e32 v10, v2
	v_mov_b32_e32 v9, s20
	ds_add_u64 v0, v[9:10]
	s_trap 2
.LBB6_543:                              ;   in Loop: Header=BB6_491 Depth=2
	s_or_b32 exec_lo, exec_lo, s19
	s_trap 2
	ds_read_b64 v[9:10], v0
	s_waitcnt lgkmcnt(0)
	buffer_gl0_inv
	v_add_co_u32 v50, vcc_lo, v50, v115
	v_add_co_ci_u32_e64 v51, null, 0, v51, vcc_lo
	s_mov_b32 s19, exec_lo
	v_cmpx_lt_u64_e64 v[9:10], v[50:51]
	s_cbranch_execz .LBB6_552
; %bb.544:                              ;   in Loop: Header=BB6_491 Depth=2
	s_mov_b32 s20, 0
	s_mov_b32 s23, 0
                                        ; implicit-def: $sgpr21
                                        ; implicit-def: $sgpr22
	s_inst_prefetch 0x1
	s_branch .LBB6_546
	.p2align	6
.LBB6_545:                              ;   in Loop: Header=BB6_546 Depth=3
	s_or_b32 exec_lo, exec_lo, s25
	s_and_b32 s24, exec_lo, s26
	s_or_b32 s20, s24, s20
	s_andn2_b32 s21, s21, exec_lo
	s_and_b32 s24, s22, exec_lo
	s_or_b32 s21, s21, s24
	s_andn2_b32 exec_lo, exec_lo, s20
	s_cbranch_execz .LBB6_550
.LBB6_546:                              ;   Parent Loop BB6_47 Depth=1
                                        ;     Parent Loop BB6_491 Depth=2
                                        ; =>    This Inner Loop Header: Depth=3
	s_add_i32 s23, s23, 1
	s_cmpk_lg_i32 s23, 0x2710
	s_cselect_b32 s24, -1, 0
	s_and_b32 vcc_lo, exec_lo, s24
	s_cbranch_vccz .LBB6_548
; %bb.547:                              ;   in Loop: Header=BB6_546 Depth=3
	s_mov_b32 s26, -1
	s_or_b32 s22, s22, exec_lo
	s_and_saveexec_b32 s25, s24
	s_cbranch_execz .LBB6_545
	s_branch .LBB6_549
	.p2align	6
.LBB6_548:                              ;   in Loop: Header=BB6_546 Depth=3
	s_trap 2
	ds_read_b64 v[9:10], v0
	s_andn2_b32 s24, s24, exec_lo
	s_mov_b32 s23, 0
	s_waitcnt lgkmcnt(0)
	flat_load_dword v9, v[9:10] glc dlc
	s_waitcnt vmcnt(0) lgkmcnt(0)
	buffer_gl1_inv
	buffer_gl0_inv
	v_cmp_eq_u32_e32 vcc_lo, 0, v9
	s_and_b32 s25, vcc_lo, exec_lo
	s_or_b32 s24, s24, s25
	s_mov_b32 s26, -1
	s_or_b32 s22, s22, exec_lo
	s_and_saveexec_b32 s25, s24
	s_cbranch_execz .LBB6_545
.LBB6_549:                              ;   in Loop: Header=BB6_546 Depth=3
	s_sleep 1
	s_trap 2
	ds_read_b64 v[9:10], v0
	s_waitcnt lgkmcnt(0)
	buffer_gl0_inv
	s_andn2_b32 s22, s22, exec_lo
	v_cmp_ge_u64_e32 vcc_lo, v[9:10], v[50:51]
	s_orn2_b32 s26, vcc_lo, exec_lo
	s_branch .LBB6_545
.LBB6_550:                              ;   in Loop: Header=BB6_491 Depth=2
	s_inst_prefetch 0x2
	s_or_b32 exec_lo, exec_lo, s20
	s_and_saveexec_b32 s20, s21
	s_xor_b32 s20, exec_lo, s20
	s_cbranch_execz .LBB6_552
; %bb.551:                              ;   in Loop: Header=BB6_491 Depth=2
	ds_write_b32 v0, v119
	s_trap 2
.LBB6_552:                              ;   in Loop: Header=BB6_491 Depth=2
	s_or_b32 exec_lo, exec_lo, s19
	;;#ASMSTART
	s_wakeup
	;;#ASMEND
.LBB6_553:                              ;   in Loop: Header=BB6_491 Depth=2
	s_or_b32 exec_lo, exec_lo, s18
.LBB6_554:                              ;   in Loop: Header=BB6_491 Depth=2
	s_andn2_saveexec_b32 s17, s17
	s_cbranch_execz .LBB6_556
; %bb.555:                              ;   in Loop: Header=BB6_491 Depth=2
	s_waitcnt vmcnt(0) lgkmcnt(0)
	s_waitcnt_vscnt null, 0x0
	buffer_gl1_inv
	buffer_gl0_inv
	s_barrier
.LBB6_556:                              ;   in Loop: Header=BB6_491 Depth=2
	s_or_b32 exec_lo, exec_lo, s17
.LBB6_557:                              ;   in Loop: Header=BB6_491 Depth=2
	s_or_b32 exec_lo, exec_lo, s16
	s_trap 2
	ds_read_b64 v[81:82], v0
	s_waitcnt lgkmcnt(0)
	v_cmp_eq_u64_e32 vcc_lo, 0, v[81:82]
	s_cbranch_vccnz .LBB6_566
; %bb.558:                              ;   in Loop: Header=BB6_491 Depth=2
	s_trap 2
	ds_read_b64 v[83:84], v0
	s_waitcnt lgkmcnt(0)
	v_cmp_eq_u64_e32 vcc_lo, 0, v[83:84]
	s_cbranch_vccnz .LBB6_566
; %bb.559:                              ;   in Loop: Header=BB6_491 Depth=2
	s_trap 2
	ds_read_b64 v[85:86], v0
	v_cmp_eq_u32_e64 s16, 0, v8
	v_cndmask_b32_e64 v74, 0, v80, s16
	s_mov_b32 s16, -1
	s_waitcnt lgkmcnt(0)
	v_cmp_ne_u64_e32 vcc_lo, 0, v[85:86]
	v_readfirstlane_b32 s79, v85
	s_cbranch_vccz .LBB6_595
; %bb.560:                              ;   in Loop: Header=BB6_491 Depth=2
	s_and_saveexec_b32 s17, s14
	s_cbranch_execz .LBB6_562
; %bb.561:                              ;   in Loop: Header=BB6_491 Depth=2
	ds_read_b32 v1, v0 offset:720
	s_waitcnt lgkmcnt(0)
	v_and_b32_e32 v1, 15, v1
	v_cmp_eq_u32_e32 vcc_lo, 0, v1
	s_orn2_b32 s16, vcc_lo, exec_lo
.LBB6_562:                              ;   in Loop: Header=BB6_491 Depth=2
	s_or_b32 exec_lo, exec_lo, s17
	s_and_saveexec_b32 s17, s14
	s_cbranch_execz .LBB6_564
; %bb.563:                              ;   in Loop: Header=BB6_491 Depth=2
	ds_read_b32 v1, v0 offset:784
	s_waitcnt lgkmcnt(0)
	v_and_b32_e32 v1, 15, v1
	v_cmp_eq_u32_e32 vcc_lo, 0, v1
	s_and_b32 s18, s16, vcc_lo
	s_andn2_b32 s16, s16, exec_lo
	s_and_b32 s18, s18, exec_lo
	s_or_b32 s16, s16, s18
.LBB6_564:                              ;   in Loop: Header=BB6_491 Depth=2
	s_or_b32 exec_lo, exec_lo, s17
	s_xor_b32 s16, s16, -1
	v_mov_b32_e32 v16, 0
	v_cndmask_b32_e64 v1, 0, 1, s16
	v_mov_b32_e32 v17, v74
	v_mov_b32_e32 v18, v0
	s_mov_b32 s16, -1
	v_cmp_ne_u32_e32 vcc_lo, 0, v1
	s_cbranch_vccz .LBB6_571
; %bb.565:                              ;   in Loop: Header=BB6_491 Depth=2
	s_and_saveexec_b32 s20, s16
	s_cbranch_execnz .LBB6_584
	s_branch .LBB6_594
.LBB6_566:                              ;   in Loop: Header=BB6_491 Depth=2
	s_mov_b32 s16, 0
	s_and_saveexec_b32 s17, s6
	s_cbranch_execnz .LBB6_623
.LBB6_567:                              ;   in Loop: Header=BB6_491 Depth=2
	s_or_b32 exec_lo, exec_lo, s17
                                        ; implicit-def: $vgpr8
	s_and_saveexec_b32 s17, s15
	s_xor_b32 s17, exec_lo, s17
	s_cbranch_execz .LBB6_641
.LBB6_568:                              ;   in Loop: Header=BB6_491 Depth=2
	v_and_b32_e32 v1, 16, v112
	v_and_b32_e32 v8, 16, v112
	v_cmp_ne_u32_e32 vcc_lo, 0, v1
	s_and_b32 s18, vcc_lo, s16
	s_and_saveexec_b32 s16, s18
	s_cbranch_execz .LBB6_570
; %bb.569:                              ;   in Loop: Header=BB6_491 Depth=2
	v_mov_b32_e32 v8, 1
	s_waitcnt vmcnt(0) lgkmcnt(0)
	s_waitcnt_vscnt null, 0x0
	buffer_gl1_inv
	buffer_gl0_inv
.LBB6_570:                              ;   in Loop: Header=BB6_491 Depth=2
	s_or_b32 exec_lo, exec_lo, s16
	s_andn2_saveexec_b32 s16, s17
	s_cbranch_execz .LBB6_660
	s_branch .LBB6_642
.LBB6_571:                              ;   in Loop: Header=BB6_491 Depth=2
	v_ashrrev_i32_e32 v1, 31, v74
	s_mov_b32 s18, exec_lo
	v_lshrrev_b32_e32 v1, 21, v1
	v_add_nc_u32_e32 v1, v74, v1
	v_ashrrev_i32_e32 v78, 11, v1
	v_sub_nc_u32_e32 v77, v78, v117
	v_cmpx_lt_i32_e32 0, v77
	s_cbranch_execz .LBB6_575
; %bb.572:                              ;   in Loop: Header=BB6_491 Depth=2
	s_trap 2
	buffer_load_dword v1, off, s[0:3], s33 offset:196 ; 4-byte Folded Reload
	ds_read_b64 v[8:9], v0
	s_and_b32 s20, s79, 0xff
	s_mov_b32 s19, 0
	s_mul_i32 s20, s20, 0x1010101
	s_waitcnt vmcnt(0)
	v_add_co_u32 v96, vcc_lo, v83, v1
	v_add_co_ci_u32_e64 v97, null, 0, v84, vcc_lo
	v_add_co_u32 v98, vcc_lo, v85, v1
	v_add_co_ci_u32_e64 v99, null, 0, v86, vcc_lo
	;; [unrolled: 2-line block ×3, first 2 shown]
	s_waitcnt lgkmcnt(0)
	v_add_co_u32 v102, vcc_lo, v8, v1
	v_add_co_ci_u32_e64 v103, null, 0, v9, vcc_lo
.LBB6_573:                              ;   Parent Loop BB6_47 Depth=1
                                        ;     Parent Loop BB6_491 Depth=2
                                        ; =>    This Inner Loop Header: Depth=3
	global_load_dwordx4 v[8:11], v[100:101], off slc
	global_load_dwordx4 v[16:19], v[102:103], off slc
	global_load_dwordx4 v[12:15], v[100:101], off offset:512 slc
	v_sub_nc_u32_e32 v77, v77, v115
	s_waitcnt vmcnt(2)
	v_xor_b32_e32 v1, s20, v8
	s_waitcnt vmcnt(1)
	v_xor3_b32 v4, s20, -1, v16
	v_xor_b32_e32 v5, s20, v9
	v_xnor_b32_e32 v20, s20, v17
	v_xor_b32_e32 v24, s20, v10
	v_xnor_b32_e32 v25, s20, v18
	;; [unrolled: 2-line block ×3, first 2 shown]
	v_and_b32_e32 v21, 0xff00ff, v1
	v_and_b32_e32 v22, 0xff00ff, v4
	v_lshrrev_b32_e32 v1, 8, v1
	v_lshrrev_b32_e32 v4, 8, v4
	v_and_b32_e32 v23, 0xff00ff, v5
	v_and_b32_e32 v28, 0xff00ff, v20
	v_lshrrev_b32_e32 v5, 8, v5
	v_lshrrev_b32_e32 v20, 8, v20
	v_and_b32_e32 v29, 0xff00ff, v24
	v_and_b32_e32 v30, 0xff00ff, v25
	v_add3_u32 v31, v21, v22, 0x1010101
	v_and_b32_e32 v21, 0xff00ff, v26
	v_and_b32_e32 v22, 0xff00ff, v27
	;; [unrolled: 1-line block ×6, first 2 shown]
	v_add3_u32 v28, v23, v28, 0x1010101
	v_add3_u32 v29, v29, v30, 0x1010101
	;; [unrolled: 1-line block ×5, first 2 shown]
	global_load_dwordx4 v[20:23], v[102:103], off offset:512 slc
	v_lshrrev_b32_e32 v28, 8, v28
	v_lshrrev_b32_e32 v5, 8, v24
	v_lshrrev_b32_e32 v24, 8, v25
	v_lshrrev_b32_e32 v25, 8, v26
	v_lshrrev_b32_e32 v26, 8, v27
	v_lshrrev_b32_e32 v27, 8, v31
	v_and_b32_e32 v28, 0x10001, v28
	v_and_b32_e32 v5, 0xff00ff, v5
	;; [unrolled: 1-line block ×6, first 2 shown]
	v_lshrrev_b32_e32 v29, 8, v29
	v_lshrrev_b32_e32 v30, 8, v30
	v_and_or_b32 v4, 0x1000100, v4, v28
	v_add3_u32 v5, v5, v24, 0x1010101
	v_add3_u32 v25, v25, v26, 0x1010101
	v_and_or_b32 v1, 0x1000100, v1, v27
	v_and_b32_e32 v29, 0x10001, v29
	v_and_b32_e32 v30, 0x10001, v30
	v_mul_lo_u32 v4, 0xff, v4
	s_waitcnt vmcnt(1)
	v_xor_b32_e32 v24, s20, v12
	v_mul_lo_u32 v1, 0xff, v1
	v_and_or_b32 v5, 0x1000100, v5, v29
	v_and_or_b32 v25, 0x1000100, v25, v30
	v_xor_b32_e32 v27, s20, v13
	v_bfi_b32 v9, v4, v9, v17
	v_mul_lo_u32 v4, 0xff, v5
	v_mul_lo_u32 v5, 0xff, v25
	v_bfi_b32 v8, v1, v8, v16
	v_and_b32_e32 v16, 0xff00ff, v24
	v_xor_b32_e32 v25, s20, v15
	v_bfi_b32 v10, v4, v10, v18
	v_xor_b32_e32 v4, s20, v14
	v_bfi_b32 v11, v5, v11, v19
	v_lshrrev_b32_e32 v18, 8, v24
	v_and_b32_e32 v24, 0xff00ff, v27
	v_lshrrev_b32_e32 v27, 8, v27
	v_and_b32_e32 v29, 0xff00ff, v4
	;; [unrolled: 2-line block ×3, first 2 shown]
	v_and_b32_e32 v4, 0xff00ff, v4
	s_waitcnt vmcnt(0)
	v_xnor_b32_e32 v26, s20, v20
	v_xnor_b32_e32 v1, s20, v21
	v_xnor_b32_e32 v5, s20, v22
	v_xnor_b32_e32 v28, s20, v23
	v_and_b32_e32 v17, 0xff00ff, v26
	v_lshrrev_b32_e32 v19, 8, v26
	v_and_b32_e32 v26, 0xff00ff, v1
	v_lshrrev_b32_e32 v1, 8, v1
	v_and_b32_e32 v30, 0xff00ff, v5
	v_add3_u32 v31, v16, v17, 0x1010101
	v_lshrrev_b32_e32 v5, 8, v5
	v_add3_u32 v24, v24, v26, 0x1010101
	v_and_b32_e32 v26, 0xff00ff, v27
	v_and_b32_e32 v1, 0xff00ff, v1
	;; [unrolled: 1-line block ×4, first 2 shown]
	v_add3_u32 v27, v29, v30, 0x1010101
	v_and_b32_e32 v5, 0xff00ff, v5
	v_add3_u32 v1, v26, v1, 0x1010101
	v_lshrrev_b32_e32 v26, 8, v28
	v_lshrrev_b32_e32 v28, 8, v31
	v_and_b32_e32 v16, 0xff00ff, v25
	v_lshrrev_b32_e32 v25, 8, v25
	v_add3_u32 v30, v18, v19, 0x1010101
	v_lshrrev_b32_e32 v24, 8, v24
	v_add3_u32 v4, v4, v5, 0x1010101
	v_lshrrev_b32_e32 v5, 8, v27
	v_and_b32_e32 v27, 0x10001, v28
	v_add3_u32 v29, v16, v17, 0x1010101
	v_and_b32_e32 v25, 0xff00ff, v25
	v_and_b32_e32 v26, 0xff00ff, v26
	;; [unrolled: 1-line block ×3, first 2 shown]
	v_and_or_b32 v27, 0x1000100, v30, v27
	v_and_b32_e32 v5, 0x10001, v5
	global_load_dwordx4 v[16:19], v[100:101], off offset:1024 slc
	v_add3_u32 v25, v25, v26, 0x1010101
	v_lshrrev_b32_e32 v26, 8, v29
	v_and_or_b32 v1, 0x1000100, v1, v24
	v_mul_lo_u32 v24, 0xff, v27
	v_and_or_b32 v4, 0x1000100, v4, v5
	v_and_b32_e32 v26, 0x10001, v26
	v_mul_lo_u32 v1, 0xff, v1
	v_and_or_b32 v5, 0x1000100, v25, v26
	v_bfi_b32 v12, v24, v12, v20
	global_load_dwordx4 v[24:27], v[102:103], off offset:1024 slc
	v_bfi_b32 v13, v1, v13, v21
	v_mul_lo_u32 v1, 0xff, v4
	v_mul_lo_u32 v4, 0xff, v5
	v_bfi_b32 v14, v1, v14, v22
	v_bfi_b32 v15, v4, v15, v23
	s_waitcnt vmcnt(1)
	v_xor_b32_e32 v1, s20, v16
	v_xor_b32_e32 v5, s20, v17
	;; [unrolled: 1-line block ×3, first 2 shown]
	v_and_b32_e32 v23, 0xff00ff, v1
	v_lshrrev_b32_e32 v1, 8, v1
	v_and_b32_e32 v29, 0xff00ff, v5
	v_and_b32_e32 v1, 0xff00ff, v1
	s_waitcnt vmcnt(0)
	v_xnor_b32_e32 v4, s20, v24
	v_xnor_b32_e32 v20, s20, v25
	;; [unrolled: 1-line block ×4, first 2 shown]
	v_and_b32_e32 v28, 0xff00ff, v4
	v_lshrrev_b32_e32 v4, 8, v4
	v_and_b32_e32 v30, 0xff00ff, v20
	v_and_b32_e32 v33, 0xff00ff, v31
	v_add3_u32 v23, v23, v28, 0x1010101
	v_and_b32_e32 v4, 0xff00ff, v4
	v_and_b32_e32 v28, 0xff00ff, v21
	v_add3_u32 v29, v29, v30, 0x1010101
	v_and_b32_e32 v30, 0xff00ff, v22
	v_lshrrev_b32_e32 v23, 8, v23
	v_add3_u32 v1, v1, v4, 0x1010101
	v_lshrrev_b32_e32 v4, 8, v5
	v_lshrrev_b32_e32 v5, 8, v20
	v_add3_u32 v28, v28, v30, 0x1010101
	v_xor_b32_e32 v30, s20, v19
	v_lshrrev_b32_e32 v20, 8, v22
	v_and_b32_e32 v4, 0xff00ff, v4
	v_and_b32_e32 v5, 0xff00ff, v5
	v_lshrrev_b32_e32 v22, 8, v31
	v_and_b32_e32 v32, 0xff00ff, v30
	v_and_b32_e32 v20, 0xff00ff, v20
	v_lshrrev_b32_e32 v29, 8, v29
	v_add3_u32 v4, v4, v5, 0x1010101
	v_lshrrev_b32_e32 v5, 8, v21
	v_lshrrev_b32_e32 v21, 8, v30
	v_add3_u32 v32, v32, v33, 0x1010101
	v_and_b32_e32 v22, 0xff00ff, v22
	v_and_b32_e32 v23, 0x10001, v23
	;; [unrolled: 1-line block ×4, first 2 shown]
	v_and_or_b32 v1, 0x1000100, v1, v23
	v_add3_u32 v5, v5, v20, 0x1010101
	v_lshrrev_b32_e32 v20, 8, v28
	v_and_b32_e32 v28, 0x10001, v29
	v_add3_u32 v21, v21, v22, 0x1010101
	v_lshrrev_b32_e32 v22, 8, v32
	v_mul_lo_u32 v1, 0xff, v1
	v_and_b32_e32 v20, 0x10001, v20
	v_and_or_b32 v4, 0x1000100, v4, v28
	v_and_b32_e32 v22, 0x10001, v22
	v_and_or_b32 v5, 0x1000100, v5, v20
	v_mul_lo_u32 v4, 0xff, v4
	v_bfi_b32 v16, v1, v16, v24
	v_and_or_b32 v28, 0x1000100, v21, v22
	global_load_dwordx4 v[20:23], v[100:101], off offset:1536 slc
	v_mul_lo_u32 v1, 0xff, v5
	v_add_co_u32 v100, s16, v100, v45
	v_add_co_ci_u32_e64 v101, null, 0, v101, s16
	v_bfi_b32 v17, v4, v17, v25
	v_mul_lo_u32 v4, 0xff, v28
	v_bfi_b32 v18, v1, v18, v26
	v_bfi_b32 v19, v4, v19, v27
	global_load_dwordx4 v[24:27], v[102:103], off offset:1536 slc
	v_add_co_u32 v102, vcc_lo, v102, v45
	v_add_co_ci_u32_e64 v103, null, 0, v103, vcc_lo
	v_cmp_gt_i32_e32 vcc_lo, 1, v77
	s_or_b32 s19, vcc_lo, s19
	s_waitcnt vmcnt(1)
	v_xor_b32_e32 v1, s20, v20
	v_xor_b32_e32 v5, s20, v21
	v_and_b32_e32 v29, 0xff00ff, v1
	v_lshrrev_b32_e32 v1, 8, v1
	v_and_b32_e32 v1, 0xff00ff, v1
	s_waitcnt vmcnt(0)
	v_xnor_b32_e32 v4, s20, v24
	v_xnor_b32_e32 v28, s20, v25
	;; [unrolled: 1-line block ×4, first 2 shown]
	v_and_b32_e32 v30, 0xff00ff, v4
	v_lshrrev_b32_e32 v4, 8, v4
	v_and_b32_e32 v31, 0xff00ff, v28
	v_and_b32_e32 v34, 0xff00ff, v32
	;; [unrolled: 1-line block ×3, first 2 shown]
	v_add3_u32 v29, v29, v30, 0x1010101
	v_and_b32_e32 v30, 0xff00ff, v5
	v_and_b32_e32 v4, 0xff00ff, v4
	v_lshrrev_b32_e32 v29, 8, v29
	v_add3_u32 v30, v30, v31, 0x1010101
	v_xor_b32_e32 v31, s20, v22
	v_add3_u32 v1, v1, v4, 0x1010101
	v_lshrrev_b32_e32 v4, 8, v5
	v_lshrrev_b32_e32 v5, 8, v28
	;; [unrolled: 1-line block ×3, first 2 shown]
	v_and_b32_e32 v33, 0xff00ff, v31
	v_and_b32_e32 v29, 0x10001, v29
	;; [unrolled: 1-line block ×5, first 2 shown]
	v_add3_u32 v33, v33, v34, 0x1010101
	v_xor_b32_e32 v34, s20, v23
	v_and_or_b32 v1, 0x1000100, v1, v29
	v_add3_u32 v4, v4, v5, 0x1010101
	v_lshrrev_b32_e32 v5, 8, v31
	v_lshrrev_b32_e32 v29, 8, v30
	v_and_b32_e32 v54, 0xff00ff, v34
	v_lshrrev_b32_e32 v31, 8, v35
	v_mul_lo_u32 v1, 0xff, v1
	v_and_b32_e32 v5, 0xff00ff, v5
	v_and_b32_e32 v29, 0x10001, v29
	v_add3_u32 v54, v54, v55, 0x1010101
	v_and_b32_e32 v31, 0xff00ff, v31
	v_add3_u32 v5, v5, v28, 0x1010101
	v_lshrrev_b32_e32 v28, 8, v34
	v_and_or_b32 v4, 0x1000100, v4, v29
	v_lshrrev_b32_e32 v29, 8, v33
	v_lshrrev_b32_e32 v30, 8, v54
	v_bfi_b32 v20, v1, v20, v24
	v_and_b32_e32 v28, 0xff00ff, v28
	v_mul_lo_u32 v4, 0xff, v4
	v_and_b32_e32 v29, 0x10001, v29
	v_and_b32_e32 v30, 0x10001, v30
	v_add3_u32 v28, v28, v31, 0x1010101
	v_and_or_b32 v79, 0x1000100, v5, v29
	v_bfi_b32 v21, v4, v21, v25
	v_and_or_b32 v88, 0x1000100, v28, v30
	v_mul_lo_u32 v1, 0xff, v79
	v_mul_lo_u32 v4, 0xff, v88
	v_bfi_b32 v22, v1, v22, v26
	v_bfi_b32 v23, v4, v23, v27
	global_store_dwordx4 v[96:97], v[8:11], off glc slc
	global_store_dwordx4 v[96:97], v[12:15], off offset:512 glc slc
	global_store_dwordx4 v[96:97], v[16:19], off offset:1024 glc slc
	global_store_dwordx4 v[96:97], v[20:23], off offset:1536 glc slc
	global_store_dwordx4 v[98:99], v[8:11], off glc slc
	global_store_dwordx4 v[98:99], v[12:15], off offset:512 glc slc
	global_store_dwordx4 v[98:99], v[16:19], off offset:1024 glc slc
	;; [unrolled: 1-line block ×3, first 2 shown]
	v_add_co_u32 v96, s16, v96, v45
	v_add_co_u32 v98, s17, v98, v45
	v_add_co_ci_u32_e64 v97, null, 0, v97, s16
	v_add_co_ci_u32_e64 v99, null, 0, v99, s17
	s_andn2_b32 exec_lo, exec_lo, s19
	s_cbranch_execnz .LBB6_573
; %bb.574:                              ;   in Loop: Header=BB6_491 Depth=2
	s_or_b32 exec_lo, exec_lo, s19
.LBB6_575:                              ;   in Loop: Header=BB6_491 Depth=2
	s_or_b32 exec_lo, exec_lo, s18
	v_lshlrev_b32_e32 v19, 11, v78
	v_mov_b32_e32 v16, 0
	s_mov_b32 s16, 0
	s_mov_b32 s19, exec_lo
                                        ; implicit-def: $vgpr17
                                        ; implicit-def: $vgpr18
	v_cmpx_ne_u32_e64 v74, v19
	s_cbranch_execz .LBB6_583
; %bb.576:                              ;   in Loop: Header=BB6_491 Depth=2
	v_lshlrev_b32_e32 v1, 5, v77
	v_sub_nc_u32_e32 v5, v74, v19
	s_mov_b32 s22, exec_lo
	v_sub_nc_u32_e32 v1, v47, v1
	v_ashrrev_i32_e32 v8, 31, v5
	v_ashrrev_i32_e32 v4, 31, v1
	v_lshrrev_b32_e32 v8, 23, v8
	v_lshrrev_b32_e32 v4, 27, v4
	v_add_nc_u32_e32 v8, v5, v8
	v_add_nc_u32_e32 v4, v1, v4
	v_and_b32_e32 v16, 0xfffffe00, v8
	v_and_b32_e32 v9, 0xffffffe0, v4
	v_sub_nc_u32_e32 v17, v5, v16
	v_sub_nc_u32_e32 v18, v1, v9
	v_ashrrev_i32_e32 v1, 5, v4
	v_ashrrev_i32_e32 v9, 9, v8
	v_cmp_lt_i32_e64 s16, 15, v17
	v_lshlrev_b32_e32 v4, 4, v18
	v_lshl_add_u32 v8, v1, 9, v4
	v_add_co_ci_u32_e64 v4, null, 0, v9, s16
	v_sub_nc_u32_e32 v21, v5, v8
	v_sub_nc_u32_e32 v20, v4, v1
	v_cmpx_lt_i32_e32 15, v21
	s_cbranch_execz .LBB6_582
; %bb.577:                              ;   in Loop: Header=BB6_491 Depth=2
	s_trap 2
	ds_read_b64 v[9:10], v0
	v_add_nc_u32_e32 v1, v8, v19
	s_and_b32 s24, s79, 0xff
	s_mov_b32 s23, 0
	s_mul_i32 s24, s24, 0x1010101
	v_ashrrev_i32_e32 v4, 31, v1
	v_add_co_u32 v22, vcc_lo, v1, v83
	v_add_co_ci_u32_e64 v23, null, v4, v84, vcc_lo
	v_add_co_u32 v24, vcc_lo, v1, v85
	v_add_co_ci_u32_e64 v25, null, v4, v86, vcc_lo
	;; [unrolled: 2-line block ×3, first 2 shown]
	s_waitcnt lgkmcnt(0)
	v_add_co_u32 v14, vcc_lo, v9, v1
	v_add_co_ci_u32_e64 v15, null, v10, v4, vcc_lo
.LBB6_578:                              ;   Parent Loop BB6_47 Depth=1
                                        ;     Parent Loop BB6_491 Depth=2
                                        ; =>    This Loop Header: Depth=3
                                        ;         Child Loop BB6_579 Depth 4
	global_load_dwordx4 v[8:11], v[14:15], off slc
	global_load_dwordx4 v[32:35], v[12:13], off slc
	s_mov_b64 s[20:21], 0
	s_mov_b32 s25, -1
	s_waitcnt vmcnt(1)
	v_xor3_b32 v1, s24, -1, v8
	v_xnor_b32_e32 v4, s24, v9
	v_xnor_b32_e32 v5, s24, v10
	;; [unrolled: 1-line block ×3, first 2 shown]
	s_waitcnt vmcnt(0)
	v_xor_b32_e32 v27, s24, v32
	v_xor_b32_e32 v28, s24, v33
	v_xor_b32_e32 v29, s24, v34
	v_xor_b32_e32 v30, s24, v35
	v_and_b32_e32 v31, 0xff00ff, v1
	v_lshrrev_b32_e32 v1, 8, v1
	v_and_b32_e32 v54, 0xff00ff, v4
	v_lshrrev_b32_e32 v4, 8, v4
	;; [unrolled: 2-line block ×3, first 2 shown]
	v_and_b32_e32 v64, 0xff00ff, v26
	v_and_b32_e32 v65, 0xff00ff, v27
	v_lshrrev_b32_e32 v27, 8, v27
	v_and_b32_e32 v96, 0xff00ff, v28
	v_lshrrev_b32_e32 v28, 8, v28
	v_and_b32_e32 v97, 0xff00ff, v29
	v_lshrrev_b32_e32 v29, 8, v29
	v_and_b32_e32 v98, 0xff00ff, v30
	v_lshrrev_b32_e32 v26, 8, v26
	v_lshrrev_b32_e32 v30, 8, v30
	v_and_b32_e32 v1, 0xff00ff, v1
	v_and_b32_e32 v4, 0xff00ff, v4
	;; [unrolled: 1-line block ×3, first 2 shown]
	v_add3_u32 v31, v65, v31, 0x1010101
	v_and_b32_e32 v27, 0xff00ff, v27
	v_add3_u32 v54, v96, v54, 0x1010101
	v_and_b32_e32 v28, 0xff00ff, v28
	;; [unrolled: 2-line block ×4, first 2 shown]
	v_and_b32_e32 v30, 0xff00ff, v30
	v_add3_u32 v1, v27, v1, 0x1010101
	v_lshrrev_b32_e32 v27, 8, v31
	v_add3_u32 v4, v28, v4, 0x1010101
	v_lshrrev_b32_e32 v28, 8, v54
	;; [unrolled: 2-line block ×3, first 2 shown]
	v_lshrrev_b32_e32 v31, 8, v64
	v_add3_u32 v26, v30, v26, 0x1010101
	v_and_b32_e32 v27, 0x10001, v27
	v_and_b32_e32 v28, 0x10001, v28
	;; [unrolled: 1-line block ×4, first 2 shown]
	v_and_or_b32 v1, 0x1000100, v1, v27
	v_and_or_b32 v4, 0x1000100, v4, v28
	;; [unrolled: 1-line block ×4, first 2 shown]
	v_mul_lo_u32 v1, 0xff, v1
	v_mul_lo_u32 v4, 0xff, v4
	;; [unrolled: 1-line block ×4, first 2 shown]
	v_bfi_b32 v8, v1, v32, v8
	v_bfi_b32 v9, v4, v33, v9
	;; [unrolled: 1-line block ×4, first 2 shown]
	.p2align	6
.LBB6_579:                              ;   Parent Loop BB6_47 Depth=1
                                        ;     Parent Loop BB6_491 Depth=2
                                        ;       Parent Loop BB6_578 Depth=3
                                        ; =>      This Inner Loop Header: Depth=4
	s_cmp_eq_u32 s20, 1
	s_cselect_b32 vcc_lo, -1, 0
	s_cmp_eq_u32 s20, 0
	v_cndmask_b32_e32 v26, v22, v24, vcc_lo
	v_cndmask_b32_e32 v27, v23, v25, vcc_lo
	s_mov_b64 s[20:21], 1
	v_add_co_u32 v1, s17, 0x200, v26
	v_add_co_ci_u32_e64 v4, null, 0, v27, s17
	s_cselect_b32 s17, -1, 0
	v_cndmask_b32_e32 v24, v24, v1, vcc_lo
	v_cndmask_b32_e64 v22, v22, v1, s17
	v_cndmask_b32_e32 v25, v25, v4, vcc_lo
	v_cndmask_b32_e64 v23, v23, v4, s17
	s_and_b32 s18, exec_lo, s25
	s_mov_b32 s25, 0
	s_mov_b32 vcc_lo, s18
	global_store_dwordx4 v[26:27], v[8:11], off glc slc
	s_cbranch_vccnz .LBB6_579
; %bb.580:                              ;   in Loop: Header=BB6_578 Depth=3
	v_add_co_u32 v12, vcc_lo, v12, v62
	v_sub_nc_u32_e32 v21, v21, v43
	v_add_co_ci_u32_e64 v13, null, v13, v63, vcc_lo
	v_add_co_u32 v14, vcc_lo, v14, v62
	v_add_co_ci_u32_e64 v15, null, v15, v63, vcc_lo
	v_add_co_u32 v22, vcc_lo, v22, v56
	v_add_co_ci_u32_e64 v23, null, v23, v59, vcc_lo
	v_cmp_gt_i32_e32 vcc_lo, 16, v21
	v_add_co_u32 v24, s17, v24, v56
	v_add_co_ci_u32_e64 v25, null, v25, v59, s17
	v_sub_nc_u32_e32 v20, v20, v115
	s_or_b32 s23, vcc_lo, s23
	s_andn2_b32 exec_lo, exec_lo, s23
	s_cbranch_execnz .LBB6_578
; %bb.581:                              ;   in Loop: Header=BB6_491 Depth=2
	s_or_b32 exec_lo, exec_lo, s23
.LBB6_582:                              ;   in Loop: Header=BB6_491 Depth=2
	s_or_b32 exec_lo, exec_lo, s22
	v_and_b32_e32 v1, 15, v74
	v_cmp_lt_i32_e32 vcc_lo, 0, v20
	v_sub_nc_u32_e32 v4, v17, v1
	v_cndmask_b32_e32 v5, 0, v115, vcc_lo
	v_cndmask_b32_e64 v17, v17, v1, s16
	v_cndmask_b32_e64 v1, 0, v4, s16
	v_sub_nc_u32_e32 v4, v5, v20
	v_cmp_ne_u32_e32 vcc_lo, 0, v17
	v_add3_u32 v16, v16, v19, v1
	v_lshl_add_u32 v18, v4, 5, v18
	s_and_b32 s16, vcc_lo, exec_lo
.LBB6_583:                              ;   in Loop: Header=BB6_491 Depth=2
	s_or_b32 exec_lo, exec_lo, s19
	s_and_saveexec_b32 s20, s16
	s_cbranch_execz .LBB6_594
.LBB6_584:                              ;   in Loop: Header=BB6_491 Depth=2
	v_ashrrev_i32_e32 v1, 31, v18
	v_ashrrev_i32_e32 v4, 31, v17
	s_mov_b32 s16, exec_lo
	v_lshrrev_b32_e32 v1, 27, v1
	v_lshrrev_b32_e32 v4, 22, v4
	v_add_nc_u32_e32 v8, v18, v1
	v_add_nc_u32_e32 v1, v17, v4
	v_ashrrev_i32_e32 v4, 5, v8
	v_ashrrev_i32_e32 v1, 10, v1
	v_sub_nc_u32_e32 v20, v1, v4
	v_cmpx_lt_i32_e32 0, v20
	s_cbranch_execz .LBB6_588
; %bb.585:                              ;   in Loop: Header=BB6_491 Depth=2
	buffer_store_dword v1, off, s[0:3], s33 offset:216 ; 4-byte Folded Spill
	buffer_store_dword v74, off, s[0:3], s33 offset:208 ; 4-byte Folded Spill
	v_and_b32_e32 v1, 0xffffffe0, v8
	buffer_store_dword v4, off, s[0:3], s33 offset:212 ; 4-byte Folded Spill
	s_trap 2
	ds_read_b64 v[14:15], v0
	v_lshlrev_b32_e32 v4, 10, v4
	v_sub_nc_u32_e32 v1, v18, v1
	s_and_b32 s18, s79, 0xff
	s_mov_b32 s17, 0
	v_add3_u32 v1, v16, v1, v4
	v_ashrrev_i32_e32 v4, 31, v1
	v_add_co_u32 v8, vcc_lo, v1, v83
	v_add_co_ci_u32_e64 v9, null, v4, v84, vcc_lo
	v_add_co_u32 v10, vcc_lo, v1, v85
	v_add_co_ci_u32_e64 v11, null, v4, v86, vcc_lo
	;; [unrolled: 2-line block ×3, first 2 shown]
	s_waitcnt lgkmcnt(0)
	v_add_co_u32 v14, vcc_lo, v14, v1
	v_add_co_ci_u32_e64 v15, null, v15, v4, vcc_lo
.LBB6_586:                              ;   Parent Loop BB6_47 Depth=1
                                        ;     Parent Loop BB6_491 Depth=2
                                        ; =>    This Inner Loop Header: Depth=3
	s_clause 0x1f
	flat_load_ubyte v1, v[12:13] slc
	flat_load_ubyte v34, v[12:13] offset:32 slc
	flat_load_ubyte v30, v[12:13] offset:64 slc
	;; [unrolled: 1-line block ×31, first 2 shown]
	s_clause 0x1f
	flat_load_ubyte v4, v[14:15] slc
	flat_load_ubyte v5, v[14:15] offset:32 slc
	flat_load_ubyte v28, v[14:15] offset:64 slc
	;; [unrolled: 1-line block ×31, first 2 shown]
	v_sub_nc_u32_e32 v20, v20, v115
	s_waitcnt vmcnt(62) lgkmcnt(62)
	v_xor_b32_e32 v77, s18, v1
	s_waitcnt vmcnt(31) lgkmcnt(31)
	v_xor_b32_e32 v108, s18, v4
	v_cmp_lt_u16_e32 vcc_lo, v77, v108
	v_cndmask_b32_e32 v77, v4, v1, vcc_lo
	v_xor_b32_e32 v1, s18, v34
	s_waitcnt vmcnt(30) lgkmcnt(30)
	v_xor_b32_e32 v4, s18, v5
	v_cmp_lt_u16_e32 vcc_lo, v1, v4
	v_xor_b32_e32 v1, s18, v30
	s_waitcnt vmcnt(29) lgkmcnt(29)
	v_xor_b32_e32 v4, s18, v28
	v_cndmask_b32_e32 v108, v5, v34, vcc_lo
	s_waitcnt vmcnt(22) lgkmcnt(22)
	v_xor_b32_e32 v5, s18, v65
	v_cmp_lt_u16_e32 vcc_lo, v1, v4
	v_xor_b32_e32 v1, s18, v121
	v_xor_b32_e32 v4, s18, v29
	v_cndmask_b32_e32 v110, v28, v30, vcc_lo
	s_waitcnt vmcnt(21) lgkmcnt(21)
	v_xor_b32_e32 v28, s18, v116
	v_cmp_lt_u16_e32 vcc_lo, v1, v4
	v_xor_b32_e32 v1, s18, v120
	;; [unrolled: 6-line block ×4, first 2 shown]
	v_xor_b32_e32 v4, s18, v54
	v_cndmask_b32_e32 v30, v35, v109, vcc_lo
	v_cmp_lt_u16_e32 vcc_lo, v1, v4
	v_xor_b32_e32 v1, s18, v105
	v_xor_b32_e32 v4, s18, v55
	v_cndmask_b32_e32 v34, v54, v106, vcc_lo
	s_waitcnt vmcnt(17) lgkmcnt(17)
	v_xor_b32_e32 v54, s18, v125
	v_cmp_lt_u16_e32 vcc_lo, v1, v4
	v_xor_b32_e32 v1, s18, v95
	v_xor_b32_e32 v4, s18, v64
	v_cndmask_b32_e32 v35, v55, v105, vcc_lo
	s_waitcnt vmcnt(16) lgkmcnt(16)
	v_xor_b32_e32 v55, s18, v126
	v_cmp_lt_u16_e32 vcc_lo, v1, v4
	v_xor_b32_e32 v4, s18, v93
	v_cndmask_b32_e32 v1, v64, v95, vcc_lo
	v_cmp_lt_u16_e32 vcc_lo, v4, v5
	v_xor_b32_e32 v5, s18, v33
	s_waitcnt vmcnt(15) lgkmcnt(15)
	v_xor_b32_e32 v64, s18, v74
	v_cndmask_b32_e32 v4, v65, v93, vcc_lo
	v_cmp_lt_u16_e32 vcc_lo, v5, v28
	v_xor_b32_e32 v28, s18, v92
	s_waitcnt vmcnt(14) lgkmcnt(14)
	v_xor_b32_e32 v65, s18, v75
	v_cndmask_b32_e32 v5, v116, v33, vcc_lo
	v_cmp_lt_u16_e32 vcc_lo, v28, v29
	v_xor_b32_e32 v29, s18, v90
	v_xor_b32_e32 v33, s18, v124
	v_cndmask_b32_e32 v28, v117, v92, vcc_lo
	v_cmp_lt_u16_e32 vcc_lo, v29, v31
	v_xor_b32_e32 v31, s18, v88
	v_cndmask_b32_e32 v29, v123, v90, vcc_lo
	v_cmp_lt_u16_e32 vcc_lo, v31, v33
	;; [unrolled: 3-line block ×6, first 2 shown]
	v_xor_b32_e32 v65, s18, v101
	v_cndmask_b32_e32 v64, v75, v102, vcc_lo
	s_waitcnt vmcnt(13) lgkmcnt(13)
	v_xor_b32_e32 v102, s18, v70
	v_cmp_lt_u16_e32 vcc_lo, v65, v102
	v_cndmask_b32_e32 v65, v70, v101, vcc_lo
	v_xor_b32_e32 v70, s18, v100
	s_waitcnt vmcnt(12) lgkmcnt(12)
	v_xor_b32_e32 v101, s18, v71
	v_cmp_lt_u16_e32 vcc_lo, v70, v101
	v_cndmask_b32_e32 v70, v71, v100, vcc_lo
	v_xor_b32_e32 v71, s18, v99
	s_waitcnt vmcnt(11) lgkmcnt(11)
	v_xor_b32_e32 v100, s18, v47
	v_cmp_lt_u16_e32 vcc_lo, v71, v100
	s_waitcnt vmcnt(10) lgkmcnt(10)
	v_xor_b32_e32 v100, s18, v19
	v_cndmask_b32_e32 v71, v47, v99, vcc_lo
	v_xor_b32_e32 v99, s18, v98
	v_cmp_lt_u16_e32 vcc_lo, v99, v100
	s_waitcnt vmcnt(9) lgkmcnt(9)
	v_xor_b32_e32 v99, s18, v21
	v_cndmask_b32_e32 v19, v19, v98, vcc_lo
	;; [unrolled: 5-line block ×3, first 2 shown]
	v_xor_b32_e32 v97, s18, v96
	v_cmp_lt_u16_e32 vcc_lo, v97, v98
	v_xor_b32_e32 v97, s18, v86
	s_waitcnt vmcnt(7) lgkmcnt(7)
	v_xor_b32_e32 v98, s18, v122
	v_cndmask_b32_e32 v96, v76, v96, vcc_lo
	v_cmp_lt_u16_e32 vcc_lo, v97, v98
	v_xor_b32_e32 v97, s18, v85
	s_waitcnt vmcnt(6) lgkmcnt(6)
	v_xor_b32_e32 v98, s18, v111
	v_cndmask_b32_e32 v86, v122, v86, vcc_lo
	;; [unrolled: 5-line block ×6, first 2 shown]
	v_cmp_lt_u16_e32 vcc_lo, v97, v98
	s_waitcnt vmcnt(1) lgkmcnt(1)
	v_xor_b32_e32 v97, s18, v91
	v_cndmask_b32_e32 v24, v32, v24, vcc_lo
	v_xor_b32_e32 v32, s18, v23
	v_cmp_lt_u16_e32 vcc_lo, v32, v97
	v_xor_b32_e32 v32, s18, v22
	s_waitcnt vmcnt(0) lgkmcnt(0)
	v_xor_b32_e32 v97, s18, v89
	v_cndmask_b32_e32 v23, v91, v23, vcc_lo
	v_cmp_lt_u16_e32 vcc_lo, v32, v97
	v_cndmask_b32_e32 v22, v89, v22, vcc_lo
	v_add_co_u32 v12, vcc_lo, v12, v44
	v_add_co_ci_u32_e64 v13, null, 0, v13, vcc_lo
	v_add_co_u32 v14, vcc_lo, v14, v44
	flat_store_byte v[8:9], v77 glc slc
	flat_store_byte v[8:9], v108 offset:32 glc slc
	flat_store_byte v[8:9], v110 offset:64 glc slc
	;; [unrolled: 1-line block ×31, first 2 shown]
	flat_store_byte v[10:11], v77 glc slc
	flat_store_byte v[10:11], v108 offset:32 glc slc
	flat_store_byte v[10:11], v110 offset:64 glc slc
	;; [unrolled: 1-line block ×31, first 2 shown]
	v_add_co_ci_u32_e64 v15, null, 0, v15, vcc_lo
	v_add_co_u32 v8, vcc_lo, v8, v44
	v_add_co_ci_u32_e64 v9, null, 0, v9, vcc_lo
	v_add_co_u32 v10, vcc_lo, v10, v44
	v_add_co_ci_u32_e64 v11, null, 0, v11, vcc_lo
	v_cmp_gt_i32_e32 vcc_lo, 1, v20
	s_or_b32 s17, vcc_lo, s17
	s_andn2_b32 exec_lo, exec_lo, s17
	s_cbranch_execnz .LBB6_586
; %bb.587:                              ;   in Loop: Header=BB6_491 Depth=2
	s_or_b32 exec_lo, exec_lo, s17
	s_clause 0x4
	buffer_load_dword v70, off, s[0:3], s33 offset:220
	buffer_load_dword v71, off, s[0:3], s33 offset:224
	;; [unrolled: 1-line block ×5, first 2 shown]
	v_and_b32_e32 v47, 31, v0
	v_lshrrev_b32_e32 v117, 5, v0
.LBB6_588:                              ;   in Loop: Header=BB6_491 Depth=2
	s_or_b32 exec_lo, exec_lo, s16
	s_waitcnt vmcnt(0)
	v_lshlrev_b32_e32 v8, 10, v1
	v_cmp_ne_u32_e32 vcc_lo, v17, v8
	s_and_b32 exec_lo, exec_lo, vcc_lo
	s_cbranch_execz .LBB6_594
; %bb.589:                              ;   in Loop: Header=BB6_491 Depth=2
	v_lshlrev_b32_e32 v1, 5, v4
	v_lshlrev_b32_e32 v4, 5, v20
	v_sub_nc_u32_e32 v1, v18, v1
	v_sub_nc_u32_e32 v1, v1, v4
	v_add_nc_u32_e32 v8, v8, v1
	v_sub_nc_u32_e32 v17, v17, v8
	v_cmp_lt_i32_e32 vcc_lo, 0, v17
	s_and_b32 exec_lo, exec_lo, vcc_lo
	s_cbranch_execz .LBB6_594
; %bb.590:                              ;   in Loop: Header=BB6_491 Depth=2
	s_trap 2
	ds_read_b128 v[9:12], v0
	v_add_nc_u32_e32 v1, v8, v16
	s_and_b32 s21, s79, 0xff
	s_mov_b32 s22, 0
	v_ashrrev_i32_e32 v4, 31, v1
	s_waitcnt lgkmcnt(0)
	v_add_co_u32 v8, vcc_lo, v9, v1
	v_add_co_ci_u32_e64 v9, null, v10, v4, vcc_lo
	v_add_co_u32 v10, vcc_lo, v11, v1
	v_add_co_ci_u32_e64 v11, null, v12, v4, vcc_lo
	v_mov_b32_e32 v13, v9
	v_mov_b32_e32 v12, v8
	;; [unrolled: 1-line block ×4, first 2 shown]
.LBB6_591:                              ;   Parent Loop BB6_47 Depth=1
                                        ;     Parent Loop BB6_491 Depth=2
                                        ; =>    This Loop Header: Depth=3
                                        ;         Child Loop BB6_592 Depth 4
	flat_load_ubyte v1, v[14:15] slc
	flat_load_ubyte v4, v[12:13] slc
	s_mov_b64 s[18:19], 0
	s_mov_b32 s23, -1
	s_waitcnt vmcnt(1) lgkmcnt(1)
	v_xor_b32_e32 v5, s21, v1
	s_waitcnt vmcnt(0) lgkmcnt(0)
	v_xor_b32_e32 v16, s21, v4
	v_cmp_lt_u16_e32 vcc_lo, v16, v5
	v_cndmask_b32_e32 v16, v1, v4, vcc_lo
	.p2align	6
.LBB6_592:                              ;   Parent Loop BB6_47 Depth=1
                                        ;     Parent Loop BB6_491 Depth=2
                                        ;       Parent Loop BB6_591 Depth=3
                                        ; =>      This Inner Loop Header: Depth=4
	s_cmp_eq_u32 s18, 1
	s_cselect_b32 vcc_lo, -1, 0
	s_cmp_eq_u32 s18, 0
	v_cndmask_b32_e32 v18, v8, v10, vcc_lo
	v_cndmask_b32_e32 v19, v9, v11, vcc_lo
	s_mov_b64 s[18:19], 1
	v_add_co_u32 v1, s16, v18, 32
	v_add_co_ci_u32_e64 v4, null, 0, v19, s16
	s_cselect_b32 s16, -1, 0
	v_cndmask_b32_e32 v10, v10, v1, vcc_lo
	v_cndmask_b32_e64 v8, v8, v1, s16
	v_cndmask_b32_e32 v11, v11, v4, vcc_lo
	v_cndmask_b32_e64 v9, v9, v4, s16
	s_and_b32 s17, exec_lo, s23
	s_mov_b32 s23, 0
	s_mov_b32 vcc_lo, s17
	flat_store_byte v[18:19], v16 glc slc
	s_cbranch_vccnz .LBB6_592
; %bb.593:                              ;   in Loop: Header=BB6_591 Depth=3
	v_add_co_u32 v12, vcc_lo, v12, v60
	v_sub_nc_u32_e32 v17, v17, v118
	v_add_co_ci_u32_e64 v13, null, v13, v61, vcc_lo
	v_add_co_u32 v14, vcc_lo, v14, v60
	v_add_co_ci_u32_e64 v15, null, v15, v61, vcc_lo
	v_add_co_u32 v8, vcc_lo, v8, v46
	v_add_co_ci_u32_e64 v9, null, v9, v57, vcc_lo
	v_cmp_gt_i32_e32 vcc_lo, 1, v17
	v_add_co_u32 v10, s16, v10, v46
	v_add_co_ci_u32_e64 v11, null, v11, v57, s16
	s_or_b32 s22, vcc_lo, s22
	s_andn2_b32 exec_lo, exec_lo, s22
	s_cbranch_execnz .LBB6_591
.LBB6_594:                              ;   in Loop: Header=BB6_491 Depth=2
	s_or_b32 exec_lo, exec_lo, s20
	s_mov_b32 s16, 0
.LBB6_595:                              ;   in Loop: Header=BB6_491 Depth=2
	s_and_b32 vcc_lo, exec_lo, s16
	s_cbranch_vccz .LBB6_622
; %bb.596:                              ;   in Loop: Header=BB6_491 Depth=2
	s_mov_b32 s16, -1
	s_and_saveexec_b32 s17, s14
	s_cbranch_execz .LBB6_598
; %bb.597:                              ;   in Loop: Header=BB6_491 Depth=2
	ds_read_b32 v8, v0 offset:720
	s_waitcnt lgkmcnt(0)
	v_and_b32_e32 v8, 15, v8
	v_cmp_eq_u32_e32 vcc_lo, 0, v8
	s_orn2_b32 s16, vcc_lo, exec_lo
.LBB6_598:                              ;   in Loop: Header=BB6_491 Depth=2
	s_or_b32 exec_lo, exec_lo, s17
	s_and_saveexec_b32 s17, s12
	s_cbranch_execz .LBB6_600
; %bb.599:                              ;   in Loop: Header=BB6_491 Depth=2
	ds_read_b32 v8, v0 offset:784
	s_waitcnt lgkmcnt(0)
	v_and_b32_e32 v8, 15, v8
	v_cmp_eq_u32_e32 vcc_lo, 0, v8
	s_and_b32 s18, s16, vcc_lo
	s_andn2_b32 s16, s16, exec_lo
	s_and_b32 s18, s18, exec_lo
	s_or_b32 s16, s16, s18
.LBB6_600:                              ;   in Loop: Header=BB6_491 Depth=2
	s_or_b32 exec_lo, exec_lo, s17
	s_xor_b32 s16, s16, -1
	v_mov_b32_e32 v20, 0
	v_cndmask_b32_e64 v8, 0, 1, s16
	v_mov_b32_e32 v21, v74
	v_mov_b32_e32 v22, v0
	s_mov_b32 s16, -1
	v_cmp_ne_u32_e32 vcc_lo, 0, v8
	s_cbranch_vccz .LBB6_602
; %bb.601:                              ;   in Loop: Header=BB6_491 Depth=2
	s_and_saveexec_b32 s88, s16
	s_cbranch_execnz .LBB6_613
	s_branch .LBB6_621
.LBB6_602:                              ;   in Loop: Header=BB6_491 Depth=2
	v_ashrrev_i32_e32 v8, 31, v74
	s_mov_b32 s17, exec_lo
	v_lshrrev_b32_e32 v8, 21, v8
	v_add_nc_u32_e32 v8, v74, v8
	v_ashrrev_i32_e32 v101, 11, v8
	v_sub_nc_u32_e32 v100, v101, v117
	v_cmpx_lt_i32_e32 0, v100
	s_cbranch_execz .LBB6_606
; %bb.603:                              ;   in Loop: Header=BB6_491 Depth=2
	s_trap 2
	buffer_load_dword v1, off, s[0:3], s33 offset:196 ; 4-byte Folded Reload
	ds_read_b64 v[8:9], v0
	s_and_b32 s19, s79, 0xff
	s_mov_b32 s18, 0
	s_mul_i32 s19, s19, 0x1010101
	s_waitcnt vmcnt(0)
	v_add_co_u32 v85, vcc_lo, v81, v1
	v_add_co_ci_u32_e64 v86, null, 0, v82, vcc_lo
	v_add_co_u32 v96, vcc_lo, v83, v1
	v_add_co_ci_u32_e64 v97, null, 0, v84, vcc_lo
	s_waitcnt lgkmcnt(0)
	v_add_co_u32 v98, vcc_lo, v8, v1
	v_add_co_ci_u32_e64 v99, null, 0, v9, vcc_lo
.LBB6_604:                              ;   Parent Loop BB6_47 Depth=1
                                        ;     Parent Loop BB6_491 Depth=2
                                        ; =>    This Inner Loop Header: Depth=3
	global_load_dwordx4 v[8:11], v[85:86], off slc
	global_load_dwordx4 v[20:23], v[98:99], off slc
	global_load_dwordx4 v[12:15], v[85:86], off offset:512 slc
	v_sub_nc_u32_e32 v100, v100, v115
	s_waitcnt vmcnt(2)
	v_xor_b32_e32 v24, s19, v8
	s_waitcnt vmcnt(1)
	v_xor3_b32 v25, s19, -1, v20
	v_xor_b32_e32 v26, s19, v9
	v_xnor_b32_e32 v27, s19, v21
	v_xor_b32_e32 v30, s19, v10
	v_and_b32_e32 v16, 0xff00ff, v24
	v_and_b32_e32 v17, 0xff00ff, v25
	;; [unrolled: 1-line block ×4, first 2 shown]
	v_xnor_b32_e32 v32, s19, v22
	v_xor_b32_e32 v33, s19, v11
	v_add3_u32 v78, v16, v17, 0x1010101
	v_xnor_b32_e32 v34, s19, v23
	v_add3_u32 v79, v18, v19, 0x1010101
	global_load_dwordx4 v[16:19], v[98:99], off offset:512 slc
	v_and_b32_e32 v35, 0xff00ff, v30
	v_and_b32_e32 v102, 0xff00ff, v32
	;; [unrolled: 1-line block ×4, first 2 shown]
	v_lshrrev_b32_e32 v24, 8, v24
	v_lshrrev_b32_e32 v25, 8, v25
	v_add3_u32 v35, v35, v102, 0x1010101
	v_lshrrev_b32_e32 v26, 8, v26
	v_add3_u32 v102, v103, v77, 0x1010101
	v_and_b32_e32 v24, 0xff00ff, v24
	v_and_b32_e32 v25, 0xff00ff, v25
	v_lshrrev_b32_e32 v103, 8, v78
	v_lshrrev_b32_e32 v27, 8, v27
	;; [unrolled: 1-line block ×4, first 2 shown]
	v_add3_u32 v24, v24, v25, 0x1010101
	v_and_b32_e32 v103, 0x10001, v103
	v_and_b32_e32 v26, 0xff00ff, v26
	;; [unrolled: 1-line block ×3, first 2 shown]
	v_lshrrev_b32_e32 v77, 8, v79
	v_and_b32_e32 v30, 0xff00ff, v30
	v_and_b32_e32 v32, 0xff00ff, v32
	v_lshrrev_b32_e32 v35, 8, v35
	v_and_or_b32 v24, 0x1000100, v24, v103
	v_add3_u32 v26, v26, v27, 0x1010101
	v_lshrrev_b32_e32 v33, 8, v33
	v_lshrrev_b32_e32 v34, 8, v34
	v_and_b32_e32 v77, 0x10001, v77
	v_add3_u32 v30, v30, v32, 0x1010101
	v_and_b32_e32 v35, 0x10001, v35
	v_mul_lo_u32 v24, 0xff, v24
	v_and_b32_e32 v33, 0xff00ff, v33
	v_and_b32_e32 v34, 0xff00ff, v34
	v_lshrrev_b32_e32 v102, 8, v102
	v_and_or_b32 v26, 0x1000100, v26, v77
	v_and_or_b32 v30, 0x1000100, v30, v35
	s_waitcnt vmcnt(1)
	v_xor_b32_e32 v103, s19, v14
	v_add3_u32 v33, v33, v34, 0x1010101
	v_and_b32_e32 v102, 0x10001, v102
	v_mul_lo_u32 v26, 0xff, v26
	v_bfi_b32 v8, v24, v8, v20
	v_mul_lo_u32 v20, 0xff, v30
	v_xor_b32_e32 v25, s19, v12
	v_and_or_b32 v33, 0x1000100, v33, v102
	v_xor_b32_e32 v32, s19, v13
	v_bfi_b32 v9, v26, v9, v21
	v_xor_b32_e32 v26, s19, v15
	v_bfi_b32 v10, v20, v10, v22
	v_mul_lo_u32 v20, 0xff, v33
	v_and_b32_e32 v33, 0xff00ff, v103
	v_and_b32_e32 v22, 0xff00ff, v32
	;; [unrolled: 1-line block ×3, first 2 shown]
	v_lshrrev_b32_e32 v32, 8, v32
	v_lshrrev_b32_e32 v26, 8, v26
	v_bfi_b32 v11, v20, v11, v23
	v_and_b32_e32 v20, 0xff00ff, v25
	v_lshrrev_b32_e32 v25, 8, v25
	v_and_b32_e32 v32, 0xff00ff, v32
	v_and_b32_e32 v26, 0xff00ff, v26
	;; [unrolled: 1-line block ×3, first 2 shown]
	s_waitcnt vmcnt(0)
	v_xnor_b32_e32 v24, s19, v18
	v_xnor_b32_e32 v30, s19, v19
	;; [unrolled: 1-line block ×4, first 2 shown]
	v_and_b32_e32 v35, 0xff00ff, v24
	v_and_b32_e32 v77, 0xff00ff, v30
	;; [unrolled: 1-line block ×4, first 2 shown]
	v_lshrrev_b32_e32 v27, 8, v27
	v_add3_u32 v33, v33, v35, 0x1010101
	v_add3_u32 v35, v102, v77, 0x1010101
	v_lshrrev_b32_e32 v34, 8, v34
	v_lshrrev_b32_e32 v102, 8, v103
	;; [unrolled: 1-line block ×4, first 2 shown]
	v_and_b32_e32 v27, 0xff00ff, v27
	v_and_b32_e32 v34, 0xff00ff, v34
	;; [unrolled: 1-line block ×5, first 2 shown]
	v_add3_u32 v78, v20, v21, 0x1010101
	v_add3_u32 v79, v22, v23, 0x1010101
	global_load_dwordx4 v[20:23], v[85:86], off offset:1024 slc
	v_add3_u32 v103, v25, v27, 0x1010101
	v_add3_u32 v32, v32, v34, 0x1010101
	v_add3_u32 v34, v102, v24, 0x1010101
	v_add3_u32 v30, v26, v30, 0x1010101
	global_load_dwordx4 v[24:27], v[98:99], off offset:1024 slc
	v_lshrrev_b32_e32 v77, 8, v79
	v_lshrrev_b32_e32 v33, 8, v33
	;; [unrolled: 1-line block ×4, first 2 shown]
	v_and_b32_e32 v77, 0x10001, v77
	v_and_b32_e32 v33, 0x10001, v33
	;; [unrolled: 1-line block ×4, first 2 shown]
	v_and_or_b32 v32, 0x1000100, v32, v77
	v_and_or_b32 v33, 0x1000100, v34, v33
	;; [unrolled: 1-line block ×4, first 2 shown]
	v_mul_lo_u32 v32, 0xff, v32
	v_mul_lo_u32 v34, 0xff, v102
	v_bfi_b32 v13, v32, v13, v17
	v_mul_lo_u32 v17, 0xff, v33
	v_bfi_b32 v12, v34, v12, v16
	v_bfi_b32 v14, v17, v14, v18
	v_mul_lo_u32 v18, 0xff, v30
	v_bfi_b32 v15, v18, v15, v19
	s_waitcnt vmcnt(1)
	v_xor_b32_e32 v103, s19, v20
	v_xor_b32_e32 v17, s19, v21
	v_xor_b32_e32 v19, s19, v22
	v_xor_b32_e32 v32, s19, v23
	s_waitcnt vmcnt(0)
	v_xnor_b32_e32 v16, s19, v24
	v_xnor_b32_e32 v18, s19, v25
	;; [unrolled: 1-line block ×3, first 2 shown]
	v_and_b32_e32 v34, 0xff00ff, v103
	v_and_b32_e32 v102, 0xff00ff, v17
	;; [unrolled: 1-line block ×4, first 2 shown]
	v_xnor_b32_e32 v33, s19, v27
	v_lshrrev_b32_e32 v103, 8, v103
	v_lshrrev_b32_e32 v16, 8, v16
	v_add3_u32 v34, v34, v35, 0x1010101
	v_and_b32_e32 v35, 0xff00ff, v19
	v_add3_u32 v102, v102, v77, 0x1010101
	v_and_b32_e32 v77, 0xff00ff, v30
	v_and_b32_e32 v78, 0xff00ff, v33
	v_lshrrev_b32_e32 v33, 8, v33
	v_lshrrev_b32_e32 v17, 8, v17
	;; [unrolled: 1-line block ×3, first 2 shown]
	v_add3_u32 v35, v35, v77, 0x1010101
	v_and_b32_e32 v77, 0xff00ff, v32
	v_lshrrev_b32_e32 v32, 8, v32
	v_lshrrev_b32_e32 v19, 8, v19
	;; [unrolled: 1-line block ×3, first 2 shown]
	v_and_b32_e32 v33, 0xff00ff, v33
	v_add3_u32 v77, v77, v78, 0x1010101
	v_and_b32_e32 v32, 0xff00ff, v32
	v_and_b32_e32 v103, 0xff00ff, v103
	;; [unrolled: 1-line block ×7, first 2 shown]
	v_add3_u32 v32, v32, v33, 0x1010101
	v_lshrrev_b32_e32 v33, 8, v34
	v_lshrrev_b32_e32 v34, 8, v102
	;; [unrolled: 1-line block ×4, first 2 shown]
	v_add3_u32 v103, v103, v16, 0x1010101
	v_add3_u32 v78, v17, v18, 0x1010101
	;; [unrolled: 1-line block ×3, first 2 shown]
	v_and_b32_e32 v33, 0x10001, v33
	v_and_b32_e32 v34, 0x10001, v34
	;; [unrolled: 1-line block ×4, first 2 shown]
	global_load_dwordx4 v[16:19], v[85:86], off offset:1536 slc
	v_and_or_b32 v33, 0x1000100, v103, v33
	v_and_or_b32 v34, 0x1000100, v78, v34
	;; [unrolled: 1-line block ×4, first 2 shown]
	v_add_co_u32 v85, s16, v85, v45
	v_mul_lo_u32 v33, 0xff, v33
	v_mul_lo_u32 v34, 0xff, v34
	;; [unrolled: 1-line block ×4, first 2 shown]
	v_add_co_ci_u32_e64 v86, null, 0, v86, s16
	v_bfi_b32 v20, v33, v20, v24
	v_bfi_b32 v21, v34, v21, v25
	;; [unrolled: 1-line block ×4, first 2 shown]
	global_load_dwordx4 v[24:27], v[98:99], off offset:1536 slc
	v_add_co_u32 v98, vcc_lo, v98, v45
	v_add_co_ci_u32_e64 v99, null, 0, v99, vcc_lo
	v_cmp_gt_i32_e32 vcc_lo, 1, v100
	s_or_b32 s18, vcc_lo, s18
	s_waitcnt vmcnt(1)
	v_xor_b32_e32 v30, s19, v16
	v_xor_b32_e32 v33, s19, v17
	;; [unrolled: 1-line block ×4, first 2 shown]
	v_and_b32_e32 v102, 0xff00ff, v30
	v_and_b32_e32 v77, 0xff00ff, v33
	v_lshrrev_b32_e32 v30, 8, v30
	v_and_b32_e32 v30, 0xff00ff, v30
	s_waitcnt vmcnt(0)
	v_xnor_b32_e32 v32, s19, v24
	v_xnor_b32_e32 v34, s19, v25
	;; [unrolled: 1-line block ×4, first 2 shown]
	v_and_b32_e32 v103, 0xff00ff, v32
	v_lshrrev_b32_e32 v32, 8, v32
	v_and_b32_e32 v78, 0xff00ff, v89
	v_and_b32_e32 v79, 0xff00ff, v91
	v_add3_u32 v102, v102, v103, 0x1010101
	v_and_b32_e32 v103, 0xff00ff, v34
	v_and_b32_e32 v32, 0xff00ff, v32
	v_add3_u32 v103, v77, v103, 0x1010101
	v_and_b32_e32 v77, 0xff00ff, v35
	v_add3_u32 v77, v77, v78, 0x1010101
	;; [unrolled: 2-line block ×3, first 2 shown]
	v_add3_u32 v79, v30, v32, 0x1010101
	v_lshrrev_b32_e32 v30, 8, v33
	v_lshrrev_b32_e32 v32, 8, v34
	;; [unrolled: 1-line block ×4, first 2 shown]
	v_and_b32_e32 v30, 0xff00ff, v30
	v_and_b32_e32 v32, 0xff00ff, v32
	;; [unrolled: 1-line block ×4, first 2 shown]
	v_add3_u32 v88, v30, v32, 0x1010101
	v_lshrrev_b32_e32 v30, 8, v35
	v_lshrrev_b32_e32 v32, 8, v89
	v_and_b32_e32 v30, 0xff00ff, v30
	v_and_b32_e32 v32, 0xff00ff, v32
	v_add3_u32 v89, v30, v32, 0x1010101
	v_lshrrev_b32_e32 v30, 8, v90
	v_lshrrev_b32_e32 v32, 8, v91
	v_and_or_b32 v33, 0x1000100, v89, v33
	v_and_b32_e32 v30, 0xff00ff, v30
	v_and_b32_e32 v32, 0xff00ff, v32
	v_mul_lo_u32 v33, 0xff, v33
	v_add3_u32 v90, v30, v32, 0x1010101
	v_lshrrev_b32_e32 v30, 8, v102
	v_lshrrev_b32_e32 v32, 8, v103
	v_and_or_b32 v34, 0x1000100, v90, v34
	v_and_b32_e32 v30, 0x10001, v30
	v_and_b32_e32 v32, 0x10001, v32
	v_bfi_b32 v18, v33, v18, v26
	v_mul_lo_u32 v34, 0xff, v34
	v_and_or_b32 v30, 0x1000100, v79, v30
	v_and_or_b32 v32, 0x1000100, v88, v32
	v_mul_lo_u32 v30, 0xff, v30
	v_mul_lo_u32 v32, 0xff, v32
	v_bfi_b32 v19, v34, v19, v27
	v_bfi_b32 v16, v30, v16, v24
	;; [unrolled: 1-line block ×3, first 2 shown]
	global_store_dwordx4 v[96:97], v[8:11], off glc slc
	global_store_dwordx4 v[96:97], v[12:15], off offset:512 glc slc
	global_store_dwordx4 v[96:97], v[20:23], off offset:1024 glc slc
	;; [unrolled: 1-line block ×3, first 2 shown]
	v_add_co_u32 v96, s16, v96, v45
	v_add_co_ci_u32_e64 v97, null, 0, v97, s16
	s_andn2_b32 exec_lo, exec_lo, s18
	s_cbranch_execnz .LBB6_604
; %bb.605:                              ;   in Loop: Header=BB6_491 Depth=2
	s_or_b32 exec_lo, exec_lo, s18
.LBB6_606:                              ;   in Loop: Header=BB6_491 Depth=2
	s_or_b32 exec_lo, exec_lo, s17
	v_lshlrev_b32_e32 v14, 11, v101
	v_mov_b32_e32 v20, 0
	s_mov_b32 s16, 0
	s_mov_b32 s18, exec_lo
                                        ; implicit-def: $vgpr21
                                        ; implicit-def: $vgpr22
	v_cmpx_ne_u32_e64 v74, v14
	s_cbranch_execz .LBB6_612
; %bb.607:                              ;   in Loop: Header=BB6_491 Depth=2
	v_lshlrev_b32_e32 v8, 5, v100
	v_sub_nc_u32_e32 v10, v74, v14
	s_mov_b32 s19, exec_lo
	v_sub_nc_u32_e32 v8, v47, v8
	v_ashrrev_i32_e32 v11, 31, v10
	v_ashrrev_i32_e32 v9, 31, v8
	v_lshrrev_b32_e32 v11, 23, v11
	v_lshrrev_b32_e32 v9, 27, v9
	v_add_nc_u32_e32 v11, v10, v11
	v_add_nc_u32_e32 v9, v8, v9
	v_and_b32_e32 v16, 0xfffffe00, v11
	v_ashrrev_i32_e32 v11, 9, v11
	v_and_b32_e32 v12, 0xffffffe0, v9
	v_sub_nc_u32_e32 v17, v10, v16
	v_ashrrev_i32_e32 v9, 5, v9
	v_sub_nc_u32_e32 v15, v8, v12
	v_cmp_lt_i32_e32 vcc_lo, 15, v17
	v_lshlrev_b32_e32 v8, 4, v15
	v_add_co_ci_u32_e64 v11, null, 0, v11, vcc_lo
	v_lshl_add_u32 v8, v9, 9, v8
	v_sub_nc_u32_e32 v18, v11, v9
	v_sub_nc_u32_e32 v19, v10, v8
	v_cmpx_lt_i32_e32 15, v19
	s_cbranch_execz .LBB6_611
; %bb.608:                              ;   in Loop: Header=BB6_491 Depth=2
	s_trap 2
	ds_read_b64 v[12:13], v0
	v_add_nc_u32_e32 v20, v8, v14
	s_and_b32 s21, s79, 0xff
	s_mov_b32 s20, 0
	s_mul_i32 s21, s21, 0x1010101
	v_ashrrev_i32_e32 v21, 31, v20
	v_add_co_u32 v8, s16, v20, v81
	v_add_co_ci_u32_e64 v9, null, v21, v82, s16
	v_add_co_u32 v10, s16, v20, v83
	v_add_co_ci_u32_e64 v11, null, v21, v84, s16
	s_waitcnt lgkmcnt(0)
	v_add_co_u32 v12, s16, v12, v20
	v_add_co_ci_u32_e64 v13, null, v13, v21, s16
.LBB6_609:                              ;   Parent Loop BB6_47 Depth=1
                                        ;     Parent Loop BB6_491 Depth=2
                                        ; =>    This Inner Loop Header: Depth=3
	global_load_dwordx4 v[20:23], v[12:13], off slc
	global_load_dwordx4 v[24:27], v[8:9], off slc
	v_sub_nc_u32_e32 v19, v19, v43
	v_add_co_u32 v8, s16, v8, v43
	v_add_co_ci_u32_e64 v9, null, 0, v9, s16
	v_add_co_u32 v12, s16, v12, v43
	v_add_co_ci_u32_e64 v13, null, 0, v13, s16
	v_cmp_gt_i32_e64 s16, 16, v19
	v_sub_nc_u32_e32 v18, v18, v115
	s_or_b32 s20, s16, s20
	s_waitcnt vmcnt(1)
	v_xor3_b32 v30, s21, -1, v20
	v_xnor_b32_e32 v32, s21, v21
	v_xnor_b32_e32 v33, s21, v22
	;; [unrolled: 1-line block ×3, first 2 shown]
	s_waitcnt vmcnt(0)
	v_xor_b32_e32 v35, s21, v24
	v_xor_b32_e32 v85, s21, v25
	;; [unrolled: 1-line block ×4, first 2 shown]
	v_and_b32_e32 v97, 0xff00ff, v30
	v_lshrrev_b32_e32 v30, 8, v30
	v_and_b32_e32 v98, 0xff00ff, v32
	v_lshrrev_b32_e32 v32, 8, v32
	;; [unrolled: 2-line block ×3, first 2 shown]
	v_and_b32_e32 v100, 0xff00ff, v34
	v_and_b32_e32 v101, 0xff00ff, v35
	v_lshrrev_b32_e32 v35, 8, v35
	v_and_b32_e32 v102, 0xff00ff, v85
	v_lshrrev_b32_e32 v85, 8, v85
	;; [unrolled: 2-line block ×4, first 2 shown]
	v_lshrrev_b32_e32 v96, 8, v96
	v_and_b32_e32 v30, 0xff00ff, v30
	v_and_b32_e32 v32, 0xff00ff, v32
	;; [unrolled: 1-line block ×3, first 2 shown]
	v_add3_u32 v97, v101, v97, 0x1010101
	v_and_b32_e32 v35, 0xff00ff, v35
	v_add3_u32 v98, v102, v98, 0x1010101
	v_and_b32_e32 v85, 0xff00ff, v85
	;; [unrolled: 2-line block ×4, first 2 shown]
	v_and_b32_e32 v96, 0xff00ff, v96
	v_add3_u32 v30, v35, v30, 0x1010101
	v_lshrrev_b32_e32 v35, 8, v97
	v_add3_u32 v32, v85, v32, 0x1010101
	v_lshrrev_b32_e32 v85, 8, v98
	;; [unrolled: 2-line block ×3, first 2 shown]
	v_lshrrev_b32_e32 v97, 8, v100
	v_add3_u32 v34, v96, v34, 0x1010101
	v_and_b32_e32 v35, 0x10001, v35
	v_and_b32_e32 v85, 0x10001, v85
	;; [unrolled: 1-line block ×4, first 2 shown]
	v_and_or_b32 v30, 0x1000100, v30, v35
	v_and_or_b32 v32, 0x1000100, v32, v85
	;; [unrolled: 1-line block ×4, first 2 shown]
	v_mul_lo_u32 v30, 0xff, v30
	v_mul_lo_u32 v32, 0xff, v32
	v_mul_lo_u32 v33, 0xff, v33
	v_mul_lo_u32 v34, 0xff, v34
	v_bfi_b32 v20, v30, v24, v20
	v_bfi_b32 v21, v32, v25, v21
	;; [unrolled: 1-line block ×4, first 2 shown]
	global_store_dwordx4 v[10:11], v[20:23], off glc slc
	v_add_co_u32 v10, s17, v10, v43
	v_add_co_ci_u32_e64 v11, null, 0, v11, s17
	s_andn2_b32 exec_lo, exec_lo, s20
	s_cbranch_execnz .LBB6_609
; %bb.610:                              ;   in Loop: Header=BB6_491 Depth=2
	s_or_b32 exec_lo, exec_lo, s20
.LBB6_611:                              ;   in Loop: Header=BB6_491 Depth=2
	s_or_b32 exec_lo, exec_lo, s19
	v_and_b32_e32 v8, 15, v74
	v_cmp_lt_i32_e64 s16, 0, v18
	v_sub_nc_u32_e32 v9, v17, v8
	v_cndmask_b32_e64 v10, 0, v115, s16
	v_cndmask_b32_e32 v21, v17, v8, vcc_lo
	v_cndmask_b32_e32 v8, 0, v9, vcc_lo
	v_sub_nc_u32_e32 v9, v10, v18
	v_cmp_ne_u32_e32 vcc_lo, 0, v21
	v_add3_u32 v20, v16, v14, v8
	v_lshl_add_u32 v22, v9, 5, v15
	s_and_b32 s16, vcc_lo, exec_lo
.LBB6_612:                              ;   in Loop: Header=BB6_491 Depth=2
	s_or_b32 exec_lo, exec_lo, s18
	s_and_saveexec_b32 s88, s16
	s_cbranch_execz .LBB6_621
.LBB6_613:                              ;   in Loop: Header=BB6_491 Depth=2
	v_ashrrev_i32_e32 v8, 31, v22
	v_ashrrev_i32_e32 v9, 31, v21
	s_mov_b32 s89, exec_lo
	v_lshrrev_b32_e32 v8, 27, v8
	v_lshrrev_b32_e32 v9, 22, v9
	v_add_nc_u32_e32 v8, v22, v8
	v_add_nc_u32_e32 v9, v21, v9
	v_ashrrev_i32_e32 v23, 5, v8
	v_ashrrev_i32_e32 v25, 10, v9
	v_sub_nc_u32_e32 v24, v25, v23
	v_cmpx_lt_i32_e32 0, v24
	s_cbranch_execz .LBB6_617
; %bb.614:                              ;   in Loop: Header=BB6_491 Depth=2
	v_and_b32_e32 v8, 0xffffffe0, v8
	s_trap 2
	ds_read_b64 v[10:11], v0
	v_lshlrev_b32_e32 v9, 10, v23
	v_add_co_u32 v14, vcc_lo, 0x3e0, v83
	v_sub_nc_u32_e32 v8, v22, v8
	v_add_co_ci_u32_e64 v15, null, 0, v84, vcc_lo
	s_and_b32 s90, s79, 0xff
	s_mov_b32 s91, 0
	v_add3_u32 v12, v20, v8, v9
	v_ashrrev_i32_e32 v13, 31, v12
	v_add_co_u32 v8, vcc_lo, v12, v81
	v_add_co_ci_u32_e64 v9, null, v13, v82, vcc_lo
	s_waitcnt lgkmcnt(0)
	v_add_co_u32 v10, vcc_lo, v10, v12
	v_add_co_ci_u32_e64 v11, null, v11, v13, vcc_lo
	v_add_co_u32 v12, vcc_lo, v14, v12
	v_add_co_ci_u32_e64 v13, null, v15, v13, vcc_lo
.LBB6_615:                              ;   Parent Loop BB6_47 Depth=1
                                        ;     Parent Loop BB6_491 Depth=2
                                        ; =>    This Inner Loop Header: Depth=3
	flat_load_ubyte v14, v[8:9] slc
	flat_load_ubyte v15, v[10:11] slc
	flat_load_ubyte v106, v[8:9] offset:32 slc
	flat_load_ubyte v107, v[10:11] offset:32 slc
	;; [unrolled: 1-line block ×25, first 2 shown]
	v_sub_nc_u32_e32 v24, v24, v115
	s_waitcnt vmcnt(26) lgkmcnt(26)
	v_xor_b32_e32 v30, s90, v14
	s_waitcnt vmcnt(25) lgkmcnt(25)
	v_xor_b32_e32 v32, s90, v15
	v_cmp_lt_u16_e32 vcc_lo, v30, v32
	flat_load_ubyte v35, v[10:11] offset:416 slc
	flat_load_ubyte v28, v[8:9] offset:448 slc
	flat_load_ubyte v29, v[10:11] offset:448 slc
	s_clause 0x9
	flat_load_ubyte v64, v[8:9] offset:480 slc
	flat_load_ubyte v65, v[8:9] offset:512 slc
	flat_load_ubyte v4, v[8:9] offset:544 slc
	flat_load_ubyte v5, v[8:9] offset:576 slc
	flat_load_ubyte v30, v[8:9] offset:608 slc
	flat_load_ubyte v33, v[8:9] offset:640 slc
	flat_load_ubyte v32, v[8:9] offset:672 slc
	flat_load_ubyte v77, v[8:9] offset:704 slc
	flat_load_ubyte v78, v[8:9] offset:736 slc
	flat_load_ubyte v103, v[8:9] offset:768 slc
	flat_load_ubyte v54, v[10:11] offset:480 slc
	s_clause 0x6
	flat_load_ubyte v95, v[8:9] offset:800 slc
	flat_load_ubyte v93, v[8:9] offset:832 slc
	;; [unrolled: 1-line block ×7, first 2 shown]
	s_clause 0xf
	flat_load_ubyte v55, v[10:11] offset:512 slc
	flat_load_ubyte v116, v[10:11] offset:544 slc
	;; [unrolled: 1-line block ×16, first 2 shown]
	v_cndmask_b32_e32 v126, v15, v14, vcc_lo
	v_add_co_u32 v14, vcc_lo, 0xfffffc20, v12
	v_add_co_ci_u32_e64 v15, null, -1, v13, vcc_lo
	flat_store_byte v[14:15], v126 glc slc
	s_waitcnt vmcnt(61) lgkmcnt(62)
	v_xor_b32_e32 v14, s90, v106
	s_waitcnt vmcnt(60) lgkmcnt(61)
	v_xor_b32_e32 v15, s90, v107
	v_cmp_lt_u16_e32 vcc_lo, v14, v15
	v_cndmask_b32_e32 v106, v107, v106, vcc_lo
	v_add_co_u32 v14, vcc_lo, 0xfffffc40, v12
	v_add_co_ci_u32_e64 v15, null, -1, v13, vcc_lo
	flat_store_byte v[14:15], v106 glc slc
	s_waitcnt vmcnt(59) lgkmcnt(61)
	v_xor_b32_e32 v14, s90, v104
	s_waitcnt vmcnt(58) lgkmcnt(60)
	v_xor_b32_e32 v15, s90, v105
	v_cmp_lt_u16_e32 vcc_lo, v14, v15
	;; [unrolled: 9-line block ×10, first 2 shown]
	v_cndmask_b32_e32 v26, v27, v26, vcc_lo
	v_add_co_u32 v14, vcc_lo, 0xfffffd60, v12
	v_add_co_ci_u32_e64 v15, null, -1, v13, vcc_lo
	flat_store_byte v[14:15], v26 glc slc
	s_waitcnt vmcnt(41) lgkmcnt(52)
	v_xor_b32_e32 v14, s90, v18
	s_waitcnt vmcnt(40) lgkmcnt(51)
	v_xor_b32_e32 v15, s90, v19
	v_add_co_u32 v26, s28, 0xffffff40, v12
	v_add_co_ci_u32_e64 v27, null, -1, v13, s28
	v_cmp_lt_u16_e32 vcc_lo, v14, v15
	v_cndmask_b32_e32 v18, v19, v18, vcc_lo
	v_add_co_u32 v14, vcc_lo, 0xfffffd80, v12
	v_add_co_ci_u32_e64 v15, null, -1, v13, vcc_lo
	flat_store_byte v[14:15], v18 glc slc
	s_waitcnt vmcnt(39) lgkmcnt(51)
	v_xor_b32_e32 v14, s90, v16
	s_waitcnt vmcnt(38) lgkmcnt(50)
	v_xor_b32_e32 v15, s90, v17
	v_cmp_lt_u16_e32 vcc_lo, v14, v15
	v_cndmask_b32_e32 v16, v17, v16, vcc_lo
	v_add_co_u32 v14, vcc_lo, 0xfffffda0, v12
	v_add_co_ci_u32_e64 v15, null, -1, v13, vcc_lo
	v_add_co_u32 v17, s17, 0xfffffec0, v12
	v_add_co_ci_u32_e64 v18, null, -1, v13, s17
	flat_store_byte v[14:15], v16 glc slc
	s_waitcnt vmcnt(37) lgkmcnt(50)
	v_xor_b32_e32 v14, s90, v86
	s_waitcnt vmcnt(36) lgkmcnt(49)
	v_xor_b32_e32 v15, s90, v35
	v_cmp_lt_u16_e32 vcc_lo, v14, v15
	v_cndmask_b32_e32 v16, v35, v86, vcc_lo
	v_add_co_u32 v14, vcc_lo, 0xfffffdc0, v12
	v_add_co_ci_u32_e64 v15, null, -1, v13, vcc_lo
	flat_store_byte v[14:15], v16 glc slc
	s_waitcnt vmcnt(35) lgkmcnt(49)
	v_xor_b32_e32 v14, s90, v28
	s_waitcnt vmcnt(34) lgkmcnt(48)
	v_xor_b32_e32 v15, s90, v29
	v_cmp_lt_u16_e32 vcc_lo, v14, v15
	v_cndmask_b32_e32 v16, v29, v28, vcc_lo
	v_add_co_u32 v14, vcc_lo, 0xfffffde0, v12
	v_add_co_ci_u32_e64 v15, null, -1, v13, vcc_lo
	;; [unrolled: 9-line block ×3, first 2 shown]
	flat_store_byte v[14:15], v16 glc slc
	v_xor_b32_e32 v14, s90, v65
	s_waitcnt vmcnt(15) lgkmcnt(31)
	v_xor_b32_e32 v15, s90, v55
	v_cmp_lt_u16_e32 vcc_lo, v14, v15
	v_cndmask_b32_e32 v16, v55, v65, vcc_lo
	v_add_co_u32 v14, vcc_lo, 0xfffffe20, v12
	v_add_co_ci_u32_e64 v15, null, -1, v13, vcc_lo
	flat_store_byte v[14:15], v16 glc slc
	v_xor_b32_e32 v14, s90, v4
	s_waitcnt vmcnt(14) lgkmcnt(31)
	v_xor_b32_e32 v15, s90, v116
	v_cmp_lt_u16_e32 vcc_lo, v14, v15
	v_cndmask_b32_e32 v4, v116, v4, vcc_lo
	v_add_co_u32 v14, vcc_lo, 0xfffffe40, v12
	v_add_co_ci_u32_e64 v15, null, -1, v13, vcc_lo
	;; [unrolled: 8-line block ×3, first 2 shown]
	s_waitcnt vmcnt(12) lgkmcnt(30)
	v_xor_b32_e32 v5, s90, v1
	flat_store_byte v[14:15], v4 glc slc
	v_xor_b32_e32 v4, s90, v30
	v_add_co_u32 v14, s16, 0xfffffe80, v12
	v_add_co_ci_u32_e64 v15, null, -1, v13, s16
	v_cmp_lt_u16_e32 vcc_lo, v4, v5
	s_waitcnt vmcnt(11) lgkmcnt(30)
	v_xor_b32_e32 v4, s90, v117
	v_cndmask_b32_e32 v1, v1, v30, vcc_lo
	flat_store_byte v[14:15], v1 glc slc
	v_xor_b32_e32 v1, s90, v33
	v_add_co_u32 v14, vcc_lo, 0xfffffea0, v12
	v_add_co_ci_u32_e64 v15, null, -1, v13, vcc_lo
	v_cmp_lt_u16_e64 s16, v1, v4
	s_waitcnt vmcnt(10) lgkmcnt(30)
	v_xor_b32_e32 v4, s90, v34
	v_cndmask_b32_e64 v1, v117, v33, s16
	v_add_co_u32 v16, s16, 0xffffff00, v12
	flat_store_byte v[14:15], v1 glc slc
	v_xor_b32_e32 v1, s90, v32
	v_add_co_u32 v14, vcc_lo, 0xfffffee0, v12
	v_add_co_ci_u32_e64 v15, null, -1, v13, vcc_lo
	v_cmp_lt_u16_e64 s18, v1, v4
	s_waitcnt vmcnt(9) lgkmcnt(30)
	v_xor_b32_e32 v4, s90, v108
	v_cmp_gt_i32_e32 vcc_lo, 1, v24
	v_cndmask_b32_e64 v1, v34, v32, s18
	s_or_b32 s91, vcc_lo, s91
	flat_store_byte v[17:18], v1 glc slc
	v_xor_b32_e32 v1, s90, v77
	v_add_co_u32 v18, s17, 0xffffff20, v12
	v_add_co_ci_u32_e64 v17, null, -1, v13, s16
	v_cmp_lt_u16_e64 s18, v1, v4
	v_xor_b32_e32 v1, s90, v78
	s_waitcnt vmcnt(8) lgkmcnt(30)
	v_xor_b32_e32 v4, s90, v109
	v_add_co_ci_u32_e64 v19, null, -1, v13, s17
	v_cmp_lt_u16_e64 s19, v1, v4
	v_xor_b32_e32 v1, s90, v103
	s_waitcnt vmcnt(7) lgkmcnt(29)
	v_xor_b32_e32 v4, s90, v110
	v_cmp_lt_u16_e64 s20, v1, v4
	v_xor_b32_e32 v1, s90, v95
	s_waitcnt vmcnt(6) lgkmcnt(28)
	v_xor_b32_e32 v4, s90, v111
	v_cndmask_b32_e64 v5, v110, v103, s20
	v_add_co_u32 v81, s20, 0xffffffa0, v12
	v_cmp_lt_u16_e64 s21, v1, v4
	v_xor_b32_e32 v1, s90, v93
	s_waitcnt vmcnt(5) lgkmcnt(27)
	v_xor_b32_e32 v4, s90, v124
	v_add_co_ci_u32_e64 v82, null, -1, v13, s20
	v_cndmask_b32_e64 v28, v111, v95, s21
	v_add_co_u32 v83, s21, 0xffffffc0, v12
	v_cmp_lt_u16_e64 s22, v1, v4
	v_xor_b32_e32 v1, s90, v94
	s_waitcnt vmcnt(4) lgkmcnt(26)
	v_xor_b32_e32 v4, s90, v125
	v_add_co_ci_u32_e64 v84, null, -1, v13, s21
	;; [unrolled: 7-line block ×3, first 2 shown]
	v_cndmask_b32_e64 v30, v125, v94, s23
	v_add_co_u32 v8, s23, v8, v44
	v_cmp_lt_u16_e64 s24, v1, v4
	v_xor_b32_e32 v1, s90, v92
	s_waitcnt vmcnt(2) lgkmcnt(24)
	v_xor_b32_e32 v4, s90, v123
	v_add_co_ci_u32_e64 v9, null, 0, v9, s23
	v_cndmask_b32_e64 v31, v122, v91, s24
	v_add_co_u32 v10, s24, v10, v44
	v_cmp_lt_u16_e64 s25, v1, v4
	v_xor_b32_e32 v1, s90, v89
	s_waitcnt vmcnt(1) lgkmcnt(23)
	v_xor_b32_e32 v4, s90, v120
	v_add_co_ci_u32_e64 v11, null, 0, v11, s24
	v_cndmask_b32_e64 v54, v123, v92, s25
	v_cmp_lt_u16_e64 s26, v1, v4
	v_xor_b32_e32 v1, s90, v90
	s_waitcnt vmcnt(0) lgkmcnt(22)
	v_xor_b32_e32 v4, s90, v121
	v_cndmask_b32_e64 v55, v120, v89, s26
	v_cmp_lt_u16_e64 s27, v1, v4
	v_cndmask_b32_e64 v1, v108, v77, s18
	v_cndmask_b32_e64 v4, v109, v78, s19
	v_add_co_u32 v32, s18, 0xffffff60, v12
	v_add_co_u32 v34, s19, 0xffffff80, v12
	v_add_co_ci_u32_e64 v33, null, -1, v13, s18
	v_cndmask_b32_e64 v64, v121, v90, s27
	v_add_co_ci_u32_e64 v35, null, -1, v13, s19
	flat_store_byte v[14:15], v1 glc slc
	flat_store_byte v[16:17], v4 glc slc
	;; [unrolled: 1-line block ×10, first 2 shown]
	v_add_co_u32 v12, s16, v12, v44
	v_add_co_ci_u32_e64 v13, null, 0, v13, s16
	s_andn2_b32 exec_lo, exec_lo, s91
	s_cbranch_execnz .LBB6_615
; %bb.616:                              ;   in Loop: Header=BB6_491 Depth=2
	s_or_b32 exec_lo, exec_lo, s91
	v_lshrrev_b32_e32 v117, 5, v0
.LBB6_617:                              ;   in Loop: Header=BB6_491 Depth=2
	s_or_b32 exec_lo, exec_lo, s89
	v_lshlrev_b32_e32 v8, 10, v25
	v_cmp_ne_u32_e32 vcc_lo, v21, v8
	s_and_b32 exec_lo, exec_lo, vcc_lo
	s_cbranch_execz .LBB6_621
; %bb.618:                              ;   in Loop: Header=BB6_491 Depth=2
	v_lshlrev_b32_e32 v1, 5, v23
	v_lshlrev_b32_e32 v4, 5, v24
	v_sub_nc_u32_e32 v1, v22, v1
	v_sub_nc_u32_e32 v1, v1, v4
	v_add_nc_u32_e32 v8, v8, v1
	v_sub_nc_u32_e32 v14, v21, v8
	v_cmp_lt_i32_e32 vcc_lo, 0, v14
	s_and_b32 exec_lo, exec_lo, vcc_lo
	s_cbranch_execz .LBB6_621
; %bb.619:                              ;   in Loop: Header=BB6_491 Depth=2
	s_trap 2
	ds_read_b128 v[9:12], v0
	ds_read_b64 v[15:16], v0
	v_add_nc_u32_e32 v1, v8, v20
	s_and_b32 s17, s79, 0xff
	s_mov_b32 s18, 0
	v_ashrrev_i32_e32 v4, 31, v1
	s_waitcnt lgkmcnt(1)
	v_add_co_u32 v8, vcc_lo, v9, v1
	v_add_co_ci_u32_e64 v9, null, v10, v4, vcc_lo
	v_add_co_u32 v10, vcc_lo, v11, v1
	v_add_co_ci_u32_e64 v11, null, v12, v4, vcc_lo
	s_waitcnt lgkmcnt(0)
	v_add_co_u32 v12, vcc_lo, v15, v1
	v_add_co_ci_u32_e64 v13, null, v16, v4, vcc_lo
	.p2align	6
.LBB6_620:                              ;   Parent Loop BB6_47 Depth=1
                                        ;     Parent Loop BB6_491 Depth=2
                                        ; =>    This Inner Loop Header: Depth=3
	flat_load_ubyte v1, v[10:11] slc
	flat_load_ubyte v4, v[8:9] slc
	v_sub_nc_u32_e32 v14, v14, v118
	v_add_co_u32 v8, vcc_lo, v8, v118
	v_add_co_ci_u32_e64 v9, null, 0, v9, vcc_lo
	v_add_co_u32 v10, vcc_lo, v10, v118
	v_add_co_ci_u32_e64 v11, null, 0, v11, vcc_lo
	v_cmp_gt_i32_e32 vcc_lo, 1, v14
	s_or_b32 s18, vcc_lo, s18
	s_waitcnt vmcnt(1) lgkmcnt(1)
	v_xor_b32_e32 v5, s17, v1
	s_waitcnt vmcnt(0) lgkmcnt(0)
	v_xor_b32_e32 v15, s17, v4
	v_cmp_lt_u16_e64 s16, v15, v5
	v_cndmask_b32_e64 v1, v1, v4, s16
	flat_store_byte v[12:13], v1 glc slc
	v_add_co_u32 v12, s16, v12, v118
	v_add_co_ci_u32_e64 v13, null, 0, v13, s16
	s_andn2_b32 exec_lo, exec_lo, s18
	s_cbranch_execnz .LBB6_620
.LBB6_621:                              ;   in Loop: Header=BB6_491 Depth=2
	s_or_b32 exec_lo, exec_lo, s88
.LBB6_622:                              ;   in Loop: Header=BB6_491 Depth=2
	v_cmp_lt_i32_e64 s16, 0, v74
	s_and_saveexec_b32 s17, s6
	s_cbranch_execz .LBB6_567
.LBB6_623:                              ;   in Loop: Header=BB6_491 Depth=2
	s_and_saveexec_b32 s18, s46
	s_xor_b32 s18, exec_lo, s18
	s_cbranch_execz .LBB6_638
; %bb.624:                              ;   in Loop: Header=BB6_491 Depth=2
	s_and_saveexec_b32 s19, s11
	s_cbranch_execz .LBB6_637
; %bb.625:                              ;   in Loop: Header=BB6_491 Depth=2
	s_mov_b32 s21, exec_lo
	s_mov_b32 s20, exec_lo
	v_mbcnt_lo_u32_b32 v1, s21, 0
	s_waitcnt vmcnt(0) lgkmcnt(0)
	s_waitcnt_vscnt null, 0x0
	buffer_gl1_inv
	buffer_gl0_inv
	v_cmpx_eq_u32_e32 0, v1
	s_cbranch_execz .LBB6_627
; %bb.626:                              ;   in Loop: Header=BB6_491 Depth=2
	s_bcnt1_i32_b32 s21, s21
	v_mov_b32_e32 v9, v2
	v_mov_b32_e32 v8, s21
	ds_add_u64 v0, v[8:9]
	s_trap 2
.LBB6_627:                              ;   in Loop: Header=BB6_491 Depth=2
	s_or_b32 exec_lo, exec_lo, s20
	s_trap 2
	ds_read_b64 v[8:9], v0
	s_waitcnt lgkmcnt(0)
	buffer_gl0_inv
	v_add_co_u32 v50, vcc_lo, v50, v115
	v_add_co_ci_u32_e64 v51, null, 0, v51, vcc_lo
	s_mov_b32 s20, exec_lo
	v_cmpx_lt_u64_e64 v[8:9], v[50:51]
	s_cbranch_execz .LBB6_636
; %bb.628:                              ;   in Loop: Header=BB6_491 Depth=2
	s_mov_b32 s21, 0
	s_mov_b32 s24, 0
                                        ; implicit-def: $sgpr22
                                        ; implicit-def: $sgpr23
	s_inst_prefetch 0x1
	s_branch .LBB6_630
	.p2align	6
.LBB6_629:                              ;   in Loop: Header=BB6_630 Depth=3
	s_or_b32 exec_lo, exec_lo, s26
	s_and_b32 s25, exec_lo, s27
	s_or_b32 s21, s25, s21
	s_andn2_b32 s22, s22, exec_lo
	s_and_b32 s25, s23, exec_lo
	s_or_b32 s22, s22, s25
	s_andn2_b32 exec_lo, exec_lo, s21
	s_cbranch_execz .LBB6_634
.LBB6_630:                              ;   Parent Loop BB6_47 Depth=1
                                        ;     Parent Loop BB6_491 Depth=2
                                        ; =>    This Inner Loop Header: Depth=3
	s_add_i32 s24, s24, 1
	s_cmpk_lg_i32 s24, 0x2710
	s_cselect_b32 s25, -1, 0
	s_and_b32 vcc_lo, exec_lo, s25
	s_cbranch_vccz .LBB6_632
; %bb.631:                              ;   in Loop: Header=BB6_630 Depth=3
	s_mov_b32 s27, -1
	s_or_b32 s23, s23, exec_lo
	s_and_saveexec_b32 s26, s25
	s_cbranch_execz .LBB6_629
	s_branch .LBB6_633
	.p2align	6
.LBB6_632:                              ;   in Loop: Header=BB6_630 Depth=3
	s_trap 2
	ds_read_b64 v[8:9], v0
	s_andn2_b32 s25, s25, exec_lo
	s_mov_b32 s24, 0
	s_waitcnt lgkmcnt(0)
	flat_load_dword v1, v[8:9] glc dlc
	s_waitcnt vmcnt(0) lgkmcnt(0)
	buffer_gl1_inv
	buffer_gl0_inv
	v_cmp_eq_u32_e32 vcc_lo, 0, v1
	s_and_b32 s26, vcc_lo, exec_lo
	s_or_b32 s25, s25, s26
	s_mov_b32 s27, -1
	s_or_b32 s23, s23, exec_lo
	s_and_saveexec_b32 s26, s25
	s_cbranch_execz .LBB6_629
.LBB6_633:                              ;   in Loop: Header=BB6_630 Depth=3
	s_sleep 1
	s_trap 2
	ds_read_b64 v[8:9], v0
	s_waitcnt lgkmcnt(0)
	buffer_gl0_inv
	s_andn2_b32 s23, s23, exec_lo
	v_cmp_ge_u64_e32 vcc_lo, v[8:9], v[50:51]
	s_orn2_b32 s27, vcc_lo, exec_lo
	s_branch .LBB6_629
.LBB6_634:                              ;   in Loop: Header=BB6_491 Depth=2
	s_inst_prefetch 0x2
	s_or_b32 exec_lo, exec_lo, s21
	s_and_saveexec_b32 s21, s22
	s_xor_b32 s21, exec_lo, s21
	s_cbranch_execz .LBB6_636
; %bb.635:                              ;   in Loop: Header=BB6_491 Depth=2
	ds_write_b32 v0, v119
	s_trap 2
.LBB6_636:                              ;   in Loop: Header=BB6_491 Depth=2
	s_or_b32 exec_lo, exec_lo, s20
	;;#ASMSTART
	s_wakeup
	;;#ASMEND
.LBB6_637:                              ;   in Loop: Header=BB6_491 Depth=2
	s_or_b32 exec_lo, exec_lo, s19
.LBB6_638:                              ;   in Loop: Header=BB6_491 Depth=2
	s_andn2_saveexec_b32 s18, s18
	s_cbranch_execz .LBB6_640
; %bb.639:                              ;   in Loop: Header=BB6_491 Depth=2
	s_waitcnt vmcnt(0) lgkmcnt(0)
	s_waitcnt_vscnt null, 0x0
	buffer_gl1_inv
	buffer_gl0_inv
	s_barrier
.LBB6_640:                              ;   in Loop: Header=BB6_491 Depth=2
	s_or_b32 exec_lo, exec_lo, s18
	s_or_b32 exec_lo, exec_lo, s17
                                        ; implicit-def: $vgpr8
	s_and_saveexec_b32 s17, s15
	s_xor_b32 s17, exec_lo, s17
	s_cbranch_execnz .LBB6_568
.LBB6_641:                              ;   in Loop: Header=BB6_491 Depth=2
	s_andn2_saveexec_b32 s16, s17
	s_cbranch_execz .LBB6_660
.LBB6_642:                              ;   in Loop: Header=BB6_491 Depth=2
	s_and_saveexec_b32 s17, s46
	s_xor_b32 s17, exec_lo, s17
	s_cbranch_execz .LBB6_657
; %bb.643:                              ;   in Loop: Header=BB6_491 Depth=2
	s_and_saveexec_b32 s18, s11
	s_cbranch_execz .LBB6_656
; %bb.644:                              ;   in Loop: Header=BB6_491 Depth=2
	s_mov_b32 s20, exec_lo
	s_mov_b32 s19, exec_lo
	v_mbcnt_lo_u32_b32 v1, s20, 0
	;;#ASMSTART
	s_waitcnt lgkmcnt(0) vmcnt(0)
	;;#ASMEND
	v_cmpx_eq_u32_e32 0, v1
	s_cbranch_execz .LBB6_646
; %bb.645:                              ;   in Loop: Header=BB6_491 Depth=2
	s_bcnt1_i32_b32 s20, s20
	v_mov_b32_e32 v9, v2
	v_mov_b32_e32 v8, s20
	s_waitcnt vmcnt(0) lgkmcnt(0)
	s_waitcnt_vscnt null, 0x0
	ds_add_u64 v0, v[8:9]
	s_trap 2
.LBB6_646:                              ;   in Loop: Header=BB6_491 Depth=2
	s_or_b32 exec_lo, exec_lo, s19
	s_trap 2
	ds_read_b64 v[8:9], v0
	s_waitcnt vmcnt(0) lgkmcnt(0)
	buffer_gl0_inv
	v_add_co_u32 v50, vcc_lo, v50, v115
	v_add_co_ci_u32_e64 v51, null, 0, v51, vcc_lo
	s_mov_b32 s19, exec_lo
	v_cmpx_lt_u64_e64 v[8:9], v[50:51]
	s_cbranch_execz .LBB6_655
; %bb.647:                              ;   in Loop: Header=BB6_491 Depth=2
	s_mov_b32 s20, 0
	s_mov_b32 s23, 0
                                        ; implicit-def: $sgpr21
                                        ; implicit-def: $sgpr22
	s_inst_prefetch 0x1
	s_branch .LBB6_649
	.p2align	6
.LBB6_648:                              ;   in Loop: Header=BB6_649 Depth=3
	s_or_b32 exec_lo, exec_lo, s25
	s_and_b32 s24, exec_lo, s26
	s_or_b32 s20, s24, s20
	s_andn2_b32 s21, s21, exec_lo
	s_and_b32 s24, s22, exec_lo
	s_or_b32 s21, s21, s24
	s_andn2_b32 exec_lo, exec_lo, s20
	s_cbranch_execz .LBB6_653
.LBB6_649:                              ;   Parent Loop BB6_47 Depth=1
                                        ;     Parent Loop BB6_491 Depth=2
                                        ; =>    This Inner Loop Header: Depth=3
	s_add_i32 s23, s23, 1
	s_cmpk_lg_i32 s23, 0x2710
	s_cselect_b32 s24, -1, 0
	s_and_b32 vcc_lo, exec_lo, s24
	s_cbranch_vccz .LBB6_651
; %bb.650:                              ;   in Loop: Header=BB6_649 Depth=3
	s_mov_b32 s26, -1
	s_or_b32 s22, s22, exec_lo
	s_and_saveexec_b32 s25, s24
	s_cbranch_execz .LBB6_648
	s_branch .LBB6_652
	.p2align	6
.LBB6_651:                              ;   in Loop: Header=BB6_649 Depth=3
	s_trap 2
	ds_read_b64 v[8:9], v0
	s_andn2_b32 s24, s24, exec_lo
	s_mov_b32 s23, 0
	s_waitcnt lgkmcnt(0)
	s_waitcnt_vscnt null, 0x0
	flat_load_dword v1, v[8:9] glc dlc
	s_waitcnt vmcnt(0) lgkmcnt(0)
	buffer_gl1_inv
	buffer_gl0_inv
	v_cmp_eq_u32_e32 vcc_lo, 0, v1
	s_and_b32 s25, vcc_lo, exec_lo
	s_or_b32 s24, s24, s25
	s_mov_b32 s26, -1
	s_or_b32 s22, s22, exec_lo
	s_and_saveexec_b32 s25, s24
	s_cbranch_execz .LBB6_648
.LBB6_652:                              ;   in Loop: Header=BB6_649 Depth=3
	s_sleep 1
	s_trap 2
	ds_read_b64 v[8:9], v0
	s_waitcnt lgkmcnt(0)
	buffer_gl0_inv
	s_andn2_b32 s22, s22, exec_lo
	v_cmp_ge_u64_e32 vcc_lo, v[8:9], v[50:51]
	s_orn2_b32 s26, vcc_lo, exec_lo
	s_branch .LBB6_648
.LBB6_653:                              ;   in Loop: Header=BB6_491 Depth=2
	s_inst_prefetch 0x2
	s_or_b32 exec_lo, exec_lo, s20
	s_and_saveexec_b32 s20, s21
	s_xor_b32 s20, exec_lo, s20
	s_cbranch_execz .LBB6_655
; %bb.654:                              ;   in Loop: Header=BB6_491 Depth=2
	ds_write_b32 v0, v119
	s_trap 2
.LBB6_655:                              ;   in Loop: Header=BB6_491 Depth=2
	s_or_b32 exec_lo, exec_lo, s19
	;;#ASMSTART
	s_wakeup
	;;#ASMEND
.LBB6_656:                              ;   in Loop: Header=BB6_491 Depth=2
	s_or_b32 exec_lo, exec_lo, s18
.LBB6_657:                              ;   in Loop: Header=BB6_491 Depth=2
	s_andn2_saveexec_b32 s17, s17
	s_cbranch_execz .LBB6_659
; %bb.658:                              ;   in Loop: Header=BB6_491 Depth=2
	;;#ASMSTART
	s_waitcnt lgkmcnt(0) vmcnt(0)
	;;#ASMEND
	s_barrier
.LBB6_659:                              ;   in Loop: Header=BB6_491 Depth=2
	s_or_b32 exec_lo, exec_lo, s17
	v_and_b32_e32 v8, 16, v112
.LBB6_660:                              ;   in Loop: Header=BB6_491 Depth=2
	s_or_b32 exec_lo, exec_lo, s16
	v_cmp_ne_u32_e32 vcc_lo, 0, v8
	s_xor_b32 s16, s7, -1
	s_and_b32 s17, vcc_lo, s16
	s_and_saveexec_b32 s16, s17
	s_cbranch_execz .LBB6_662
; %bb.661:                              ;   in Loop: Header=BB6_491 Depth=2
	s_waitcnt vmcnt(0) lgkmcnt(0)
	s_waitcnt_vscnt null, 0x0
	flat_store_dword v[48:49], v119
.LBB6_662:                              ;   in Loop: Header=BB6_491 Depth=2
	s_or_b32 exec_lo, exec_lo, s16
	v_and_b32_e32 v1, 48, v112
	s_mov_b32 s16, exec_lo
	v_cmpx_ne_u32_e32 0, v1
	s_cbranch_execz .LBB6_490
; %bb.663:                              ;   in Loop: Header=BB6_491 Depth=2
	v_add_co_u32 v68, vcc_lo, v68, 2
	v_add_co_ci_u32_e64 v69, null, 0, v69, vcc_lo
	s_waitcnt vmcnt(0) lgkmcnt(0)
	s_waitcnt_vscnt null, 0x0
	flat_store_dwordx2 v[36:37], v[68:69]
	s_branch .LBB6_490
.LBB6_664:                              ;   in Loop: Header=BB6_47 Depth=1
	s_or_b32 exec_lo, exec_lo, s76
.LBB6_665:                              ;   in Loop: Header=BB6_47 Depth=1
	s_or_b32 exec_lo, exec_lo, s41
	s_mov_b32 s17, exec_lo
	v_cmpx_gt_i32_e32 2, v10
	s_cbranch_execz .LBB6_741
; %bb.666:                              ;   in Loop: Header=BB6_47 Depth=1
	v_cmp_eq_u32_e64 s19, 0, v10
	s_mov_b32 s18, 0
	s_branch .LBB6_668
.LBB6_667:                              ;   in Loop: Header=BB6_668 Depth=2
	s_or_b32 exec_lo, exec_lo, s16
	v_add_nc_u32_e32 v87, v80, v87
	s_mov_b32 s19, 0
	s_andn2_b32 exec_lo, exec_lo, s18
	s_cbranch_execz .LBB6_740
.LBB6_668:                              ;   Parent Loop BB6_47 Depth=1
                                        ; =>  This Loop Header: Depth=2
                                        ;       Child Loop BB6_674 Depth 3
                                        ;       Child Loop BB6_702 Depth 3
	;; [unrolled: 1-line block ×3, first 2 shown]
	v_sub_nc_u32_e32 v1, v3, v87
	v_and_b32_e32 v4, 12, v112
	s_mov_b32 s20, exec_lo
	v_min_i32_e32 v80, v80, v1
	v_cmpx_ne_u32_e32 0, v4
	s_cbranch_execz .LBB6_694
; %bb.669:                              ;   in Loop: Header=BB6_668 Depth=2
	v_and_b32_e32 v16, 8, v112
	s_mov_b32 s21, exec_lo
	s_waitcnt vmcnt(0) lgkmcnt(1)
	v_add_co_u32 v10, vcc_lo, v52, v16
	v_add_co_ci_u32_e64 v11, null, 0, v53, vcc_lo
	v_add_co_u32 v8, vcc_lo, v68, 2
	v_add_co_ci_u32_e64 v9, null, 0, v69, vcc_lo
	v_cmpx_lt_u64_e64 v[10:11], v[8:9]
	s_cbranch_execz .LBB6_681
; %bb.670:                              ;   in Loop: Header=BB6_668 Depth=2
	v_and_b32_e32 v1, 64, v112
	s_mov_b32 s22, 0
	s_mov_b32 s26, 0
                                        ; implicit-def: $sgpr23
                                        ; implicit-def: $sgpr24
                                        ; implicit-def: $sgpr25
	v_cmp_eq_u32_e32 vcc_lo, 0, v1
	s_branch .LBB6_674
.LBB6_671:                              ;   in Loop: Header=BB6_674 Depth=3
	s_waitcnt vmcnt(0) lgkmcnt(0)
	v_add_co_u32 v11, s16, v52, v16
	v_add_co_ci_u32_e64 v12, null, 0, v53, s16
	s_or_b32 s41, s41, exec_lo
	v_cmp_ge_u64_e64 s16, v[11:12], v[8:9]
	s_orn2_b32 s28, s16, exec_lo
.LBB6_672:                              ;   in Loop: Header=BB6_674 Depth=3
	s_or_b32 exec_lo, exec_lo, s77
	s_andn2_b32 s16, s25, exec_lo
	s_and_b32 s25, s41, exec_lo
	s_andn2_b32 s24, s24, exec_lo
	s_and_b32 s28, s28, exec_lo
	s_or_b32 s25, s16, s25
	s_or_b32 s24, s24, s28
.LBB6_673:                              ;   in Loop: Header=BB6_674 Depth=3
	s_or_b32 exec_lo, exec_lo, s27
	s_and_b32 s16, exec_lo, s24
	s_or_b32 s22, s16, s22
	s_andn2_b32 s16, s23, exec_lo
	s_and_b32 s23, s25, exec_lo
	s_or_b32 s23, s16, s23
	s_andn2_b32 exec_lo, exec_lo, s22
	s_cbranch_execz .LBB6_678
.LBB6_674:                              ;   Parent Loop BB6_47 Depth=1
                                        ;     Parent Loop BB6_668 Depth=2
                                        ; =>    This Inner Loop Header: Depth=3
	s_sleep 1
	s_waitcnt vmcnt(0) lgkmcnt(0)
	flat_load_dwordx2 v[52:53], v[36:37] glc dlc
	s_or_b32 s25, s25, exec_lo
	s_or_b32 s24, s24, exec_lo
                                        ; implicit-def: $vgpr10
	s_and_saveexec_b32 s27, vcc_lo
	s_cbranch_execz .LBB6_673
; %bb.675:                              ;   in Loop: Header=BB6_674 Depth=3
	s_cmpk_lt_i32 s26, 0x270f
	s_mov_b32 s28, -1
	s_cselect_b32 s76, -1, 0
	s_cmpk_gt_i32 s26, 0x270e
	s_cbranch_scc0 .LBB6_677
; %bb.676:                              ;   in Loop: Header=BB6_674 Depth=3
	s_trap 2
	ds_read_b64 v[10:11], v0
	s_andn2_b32 s26, s76, exec_lo
	s_mov_b32 s41, 0
	s_waitcnt vmcnt(0) lgkmcnt(0)
	s_waitcnt_vscnt null, 0x0
	flat_load_dword v10, v[10:11] glc dlc
	s_waitcnt vmcnt(0) lgkmcnt(0)
	buffer_gl1_inv
	buffer_gl0_inv
	v_cmp_eq_u32_e64 s16, 0, v10
	s_and_b32 s16, s16, exec_lo
	s_or_b32 s76, s26, s16
	s_mov_b32 s26, 0
	s_and_saveexec_b32 s77, s76
	s_cbranch_execz .LBB6_672
	s_branch .LBB6_671
.LBB6_677:                              ;   in Loop: Header=BB6_674 Depth=3
	s_add_i32 s26, s26, 1
	s_mov_b32 s41, -1
                                        ; implicit-def: $vgpr10
	s_and_saveexec_b32 s77, s76
	s_cbranch_execz .LBB6_672
	s_branch .LBB6_671
.LBB6_678:                              ;   in Loop: Header=BB6_668 Depth=2
	s_or_b32 exec_lo, exec_lo, s22
	s_xor_b32 s16, s23, -1
	s_and_saveexec_b32 s22, s16
	s_xor_b32 s16, exec_lo, s22
	s_cbranch_execz .LBB6_680
; %bb.679:                              ;   in Loop: Header=BB6_668 Depth=2
	v_or_b32_e32 v112, 64, v112
	s_waitcnt vmcnt(0) lgkmcnt(0)
	s_waitcnt_vscnt null, 0x0
	ds_write_b32 v0, v10
	s_trap 2
.LBB6_680:                              ;   in Loop: Header=BB6_668 Depth=2
	s_or_b32 exec_lo, exec_lo, s16
.LBB6_681:                              ;   in Loop: Header=BB6_668 Depth=2
	s_or_b32 exec_lo, exec_lo, s21
	v_and_b32_e32 v1, 0x108, v112
	s_mov_b32 s16, exec_lo
	;;#ASMSTART
	s_wakeup
	;;#ASMEND
                                        ; implicit-def: $vgpr10_vgpr11
	v_cmpx_ne_u32_e32 0x108, v1
	s_xor_b32 s16, exec_lo, s16
; %bb.682:                              ;   in Loop: Header=BB6_668 Depth=2
	v_and_b32_e32 v10, 7, v68
	v_mov_b32_e32 v11, v2
                                        ; implicit-def: $vgpr68_vgpr69
; %bb.683:                              ;   in Loop: Header=BB6_668 Depth=2
	s_andn2_saveexec_b32 s16, s16
	s_cbranch_execz .LBB6_685
; %bb.684:                              ;   in Loop: Header=BB6_668 Depth=2
	v_and_b32_e32 v10, 7, v68
	v_ashrrev_i32_e32 v81, 31, v80
	v_mov_b32_e32 v11, v2
	v_mad_u64_u32 v[12:13], null, v10, 24, v[6:7]
	flat_store_dwordx2 v[12:13], v[80:81] offset:8
.LBB6_685:                              ;   in Loop: Header=BB6_668 Depth=2
	s_or_b32 exec_lo, exec_lo, s16
	v_and_b32_e32 v1, 0x100, v112
	s_mov_b32 s16, -1
	s_mov_b32 s21, exec_lo
                                        ; implicit-def: $vgpr12_vgpr13
	v_cmpx_ne_u32_e32 0, v1
	s_cbranch_execz .LBB6_689
; %bb.686:                              ;   in Loop: Header=BB6_668 Depth=2
	v_mad_u64_u32 v[14:15], null, v10, 24, v[6:7]
	s_mov_b32 s22, exec_lo
	v_mov_b32_e32 v12, v15
	v_mad_u64_u32 v[12:13], null, v11, 24, v[12:13]
	v_mov_b32_e32 v15, v12
                                        ; implicit-def: $vgpr12_vgpr13
	flat_load_dword v1, v[14:15]
	s_waitcnt vmcnt(0) lgkmcnt(0)
	v_cmp_ne_u32_e32 vcc_lo, 1, v1
	v_cmpx_eq_u32_e32 1, v1
	s_cbranch_execz .LBB6_688
; %bb.687:                              ;   in Loop: Header=BB6_668 Depth=2
	flat_load_dword v12, v[14:15] offset:4 glc dlc
	s_waitcnt vmcnt(0) lgkmcnt(0)
	v_ashrrev_i32_e32 v13, 31, v12
.LBB6_688:                              ;   in Loop: Header=BB6_668 Depth=2
	s_or_b32 exec_lo, exec_lo, s22
	s_orn2_b32 s16, vcc_lo, exec_lo
.LBB6_689:                              ;   in Loop: Header=BB6_668 Depth=2
	s_or_b32 exec_lo, exec_lo, s21
	s_and_saveexec_b32 s21, s16
; %bb.690:                              ;   in Loop: Header=BB6_668 Depth=2
	v_mul_lo_u32 v1, v11, v113
	v_mul_lo_u32 v4, v10, v114
	v_mad_u64_u32 v[12:13], null, v10, v113, 0
	v_add3_u32 v13, v13, v4, v1
; %bb.691:                              ;   in Loop: Header=BB6_668 Depth=2
	s_or_b32 exec_lo, exec_lo, s21
	v_cmp_eq_u32_e32 vcc_lo, 0, v16
	v_and_b32_e32 v4, 0x2000, v112
	s_mov_b32 s16, exec_lo
	v_cndmask_b32_e32 v1, 0xd0, v40, vcc_lo
	v_add_co_u32 v10, vcc_lo, v38, v12
	v_add_co_ci_u32_e64 v11, null, v39, v13, vcc_lo
	v_add_nc_u32_e32 v1, v0, v1
	ds_write_b64 v1, v[10:11] offset:584
	v_cmpx_ne_u32_e32 0, v4
	s_cbranch_execz .LBB6_693
; %bb.692:                              ;   in Loop: Header=BB6_668 Depth=2
	ds_read_b64 v[10:11], v0 offset:872
	s_waitcnt lgkmcnt(0)
	v_add_co_u32 v10, vcc_lo, v10, 1
	v_add_co_ci_u32_e64 v11, null, 0, v11, vcc_lo
	ds_write_b64 v0, v[10:11] offset:872
.LBB6_693:                              ;   in Loop: Header=BB6_668 Depth=2
	s_or_b32 exec_lo, exec_lo, s16
	v_mov_b32_e32 v69, v9
	v_mov_b32_e32 v68, v8
.LBB6_694:                              ;   in Loop: Header=BB6_668 Depth=2
	s_or_b32 exec_lo, exec_lo, s20
	s_xor_b32 s16, s19, -1
	s_and_b32 s16, exec_lo, s16
	s_or_b32 s18, s16, s18
	s_and_saveexec_b32 s16, s6
	s_cbranch_execz .LBB6_713
; %bb.695:                              ;   in Loop: Header=BB6_668 Depth=2
	s_and_saveexec_b32 s19, s46
	s_xor_b32 s19, exec_lo, s19
	s_cbranch_execz .LBB6_710
; %bb.696:                              ;   in Loop: Header=BB6_668 Depth=2
	s_and_saveexec_b32 s20, s11
	s_cbranch_execz .LBB6_709
; %bb.697:                              ;   in Loop: Header=BB6_668 Depth=2
	s_mov_b32 s22, exec_lo
	s_mov_b32 s21, exec_lo
	v_mbcnt_lo_u32_b32 v1, s22, 0
	s_waitcnt vmcnt(0) lgkmcnt(0)
	s_waitcnt_vscnt null, 0x0
	buffer_gl1_inv
	buffer_gl0_inv
	v_cmpx_eq_u32_e32 0, v1
	s_cbranch_execz .LBB6_699
; %bb.698:                              ;   in Loop: Header=BB6_668 Depth=2
	s_bcnt1_i32_b32 s22, s22
	v_mov_b32_e32 v9, v2
	v_mov_b32_e32 v8, s22
	ds_add_u64 v0, v[8:9]
	s_trap 2
.LBB6_699:                              ;   in Loop: Header=BB6_668 Depth=2
	s_or_b32 exec_lo, exec_lo, s21
	s_trap 2
	ds_read_b64 v[8:9], v0
	s_waitcnt lgkmcnt(0)
	buffer_gl0_inv
	v_add_co_u32 v50, vcc_lo, v50, v115
	v_add_co_ci_u32_e64 v51, null, 0, v51, vcc_lo
	s_mov_b32 s21, exec_lo
	v_cmpx_lt_u64_e64 v[8:9], v[50:51]
	s_cbranch_execz .LBB6_708
; %bb.700:                              ;   in Loop: Header=BB6_668 Depth=2
	s_mov_b32 s22, 0
	s_mov_b32 s25, 0
                                        ; implicit-def: $sgpr23
                                        ; implicit-def: $sgpr24
	s_inst_prefetch 0x1
	s_branch .LBB6_702
	.p2align	6
.LBB6_701:                              ;   in Loop: Header=BB6_702 Depth=3
	s_or_b32 exec_lo, exec_lo, s27
	s_and_b32 s26, exec_lo, s28
	s_or_b32 s22, s26, s22
	s_andn2_b32 s23, s23, exec_lo
	s_and_b32 s26, s24, exec_lo
	s_or_b32 s23, s23, s26
	s_andn2_b32 exec_lo, exec_lo, s22
	s_cbranch_execz .LBB6_706
.LBB6_702:                              ;   Parent Loop BB6_47 Depth=1
                                        ;     Parent Loop BB6_668 Depth=2
                                        ; =>    This Inner Loop Header: Depth=3
	s_add_i32 s25, s25, 1
	s_cmpk_lg_i32 s25, 0x2710
	s_cselect_b32 s26, -1, 0
	s_and_b32 vcc_lo, exec_lo, s26
	s_cbranch_vccz .LBB6_704
; %bb.703:                              ;   in Loop: Header=BB6_702 Depth=3
	s_mov_b32 s28, -1
	s_or_b32 s24, s24, exec_lo
	s_and_saveexec_b32 s27, s26
	s_cbranch_execz .LBB6_701
	s_branch .LBB6_705
	.p2align	6
.LBB6_704:                              ;   in Loop: Header=BB6_702 Depth=3
	s_trap 2
	ds_read_b64 v[8:9], v0
	s_andn2_b32 s26, s26, exec_lo
	s_mov_b32 s25, 0
	s_waitcnt lgkmcnt(0)
	flat_load_dword v1, v[8:9] glc dlc
	s_waitcnt vmcnt(0) lgkmcnt(0)
	buffer_gl1_inv
	buffer_gl0_inv
	v_cmp_eq_u32_e32 vcc_lo, 0, v1
	s_and_b32 s27, vcc_lo, exec_lo
	s_or_b32 s26, s26, s27
	s_mov_b32 s28, -1
	s_or_b32 s24, s24, exec_lo
	s_and_saveexec_b32 s27, s26
	s_cbranch_execz .LBB6_701
.LBB6_705:                              ;   in Loop: Header=BB6_702 Depth=3
	s_sleep 1
	s_trap 2
	ds_read_b64 v[8:9], v0
	s_waitcnt lgkmcnt(0)
	buffer_gl0_inv
	s_andn2_b32 s24, s24, exec_lo
	v_cmp_ge_u64_e32 vcc_lo, v[8:9], v[50:51]
	s_orn2_b32 s28, vcc_lo, exec_lo
	s_branch .LBB6_701
.LBB6_706:                              ;   in Loop: Header=BB6_668 Depth=2
	s_inst_prefetch 0x2
	s_or_b32 exec_lo, exec_lo, s22
	s_and_saveexec_b32 s22, s23
	s_xor_b32 s22, exec_lo, s22
	s_cbranch_execz .LBB6_708
; %bb.707:                              ;   in Loop: Header=BB6_668 Depth=2
	ds_write_b32 v0, v119
	s_trap 2
.LBB6_708:                              ;   in Loop: Header=BB6_668 Depth=2
	s_or_b32 exec_lo, exec_lo, s21
	;;#ASMSTART
	s_wakeup
	;;#ASMEND
.LBB6_709:                              ;   in Loop: Header=BB6_668 Depth=2
	s_or_b32 exec_lo, exec_lo, s20
.LBB6_710:                              ;   in Loop: Header=BB6_668 Depth=2
	s_andn2_saveexec_b32 s19, s19
	s_cbranch_execz .LBB6_712
; %bb.711:                              ;   in Loop: Header=BB6_668 Depth=2
	s_waitcnt vmcnt(0) lgkmcnt(0)
	s_waitcnt_vscnt null, 0x0
	buffer_gl1_inv
	buffer_gl0_inv
	s_barrier
.LBB6_712:                              ;   in Loop: Header=BB6_668 Depth=2
	s_or_b32 exec_lo, exec_lo, s19
.LBB6_713:                              ;   in Loop: Header=BB6_668 Depth=2
	s_or_b32 exec_lo, exec_lo, s16
                                        ; implicit-def: $vgpr8
	s_and_saveexec_b32 s16, s15
	s_xor_b32 s19, exec_lo, s16
	s_cbranch_execz .LBB6_717
; %bb.714:                              ;   in Loop: Header=BB6_668 Depth=2
	s_trap 2
	ds_read_b32 v1, v0
	v_cmp_lt_i32_e32 vcc_lo, 0, v80
	v_and_b32_e32 v8, 16, v112
	s_waitcnt lgkmcnt(0)
	v_readfirstlane_b32 s16, v1
	v_and_b32_e32 v1, 16, v112
	s_cmp_eq_u32 s16, 0
	v_cmp_ne_u32_e64 s16, 0, v1
	s_cselect_b32 s20, -1, 0
	s_and_b32 s20, vcc_lo, s20
	s_and_b32 s20, s16, s20
	s_and_saveexec_b32 s16, s20
	s_cbranch_execz .LBB6_716
; %bb.715:                              ;   in Loop: Header=BB6_668 Depth=2
	v_mov_b32_e32 v8, 1
	s_waitcnt vmcnt(0)
	s_waitcnt_vscnt null, 0x0
	buffer_gl1_inv
	buffer_gl0_inv
.LBB6_716:                              ;   in Loop: Header=BB6_668 Depth=2
	s_or_b32 exec_lo, exec_lo, s16
	s_andn2_saveexec_b32 s16, s19
	s_cbranch_execz .LBB6_736
	s_branch .LBB6_718
.LBB6_717:                              ;   in Loop: Header=BB6_668 Depth=2
	s_andn2_saveexec_b32 s16, s19
	s_cbranch_execz .LBB6_736
.LBB6_718:                              ;   in Loop: Header=BB6_668 Depth=2
	s_and_saveexec_b32 s19, s46
	s_xor_b32 s19, exec_lo, s19
	s_cbranch_execz .LBB6_733
; %bb.719:                              ;   in Loop: Header=BB6_668 Depth=2
	s_and_saveexec_b32 s20, s11
	s_cbranch_execz .LBB6_732
; %bb.720:                              ;   in Loop: Header=BB6_668 Depth=2
	s_mov_b32 s22, exec_lo
	s_mov_b32 s21, exec_lo
	v_mbcnt_lo_u32_b32 v1, s22, 0
	;;#ASMSTART
	s_waitcnt lgkmcnt(0) vmcnt(0)
	;;#ASMEND
	v_cmpx_eq_u32_e32 0, v1
	s_cbranch_execz .LBB6_722
; %bb.721:                              ;   in Loop: Header=BB6_668 Depth=2
	s_bcnt1_i32_b32 s22, s22
	v_mov_b32_e32 v9, v2
	v_mov_b32_e32 v8, s22
	s_waitcnt vmcnt(0) lgkmcnt(0)
	s_waitcnt_vscnt null, 0x0
	ds_add_u64 v0, v[8:9]
	s_trap 2
.LBB6_722:                              ;   in Loop: Header=BB6_668 Depth=2
	s_or_b32 exec_lo, exec_lo, s21
	s_trap 2
	ds_read_b64 v[8:9], v0
	s_waitcnt vmcnt(0) lgkmcnt(0)
	buffer_gl0_inv
	v_add_co_u32 v50, vcc_lo, v50, v115
	v_add_co_ci_u32_e64 v51, null, 0, v51, vcc_lo
	s_mov_b32 s21, exec_lo
	v_cmpx_lt_u64_e64 v[8:9], v[50:51]
	s_cbranch_execz .LBB6_731
; %bb.723:                              ;   in Loop: Header=BB6_668 Depth=2
	s_mov_b32 s22, 0
	s_mov_b32 s25, 0
                                        ; implicit-def: $sgpr23
                                        ; implicit-def: $sgpr24
	s_inst_prefetch 0x1
	s_branch .LBB6_725
	.p2align	6
.LBB6_724:                              ;   in Loop: Header=BB6_725 Depth=3
	s_or_b32 exec_lo, exec_lo, s27
	s_and_b32 s26, exec_lo, s28
	s_or_b32 s22, s26, s22
	s_andn2_b32 s23, s23, exec_lo
	s_and_b32 s26, s24, exec_lo
	s_or_b32 s23, s23, s26
	s_andn2_b32 exec_lo, exec_lo, s22
	s_cbranch_execz .LBB6_729
.LBB6_725:                              ;   Parent Loop BB6_47 Depth=1
                                        ;     Parent Loop BB6_668 Depth=2
                                        ; =>    This Inner Loop Header: Depth=3
	s_add_i32 s25, s25, 1
	s_cmpk_lg_i32 s25, 0x2710
	s_cselect_b32 s26, -1, 0
	s_and_b32 vcc_lo, exec_lo, s26
	s_cbranch_vccz .LBB6_727
; %bb.726:                              ;   in Loop: Header=BB6_725 Depth=3
	s_mov_b32 s28, -1
	s_or_b32 s24, s24, exec_lo
	s_and_saveexec_b32 s27, s26
	s_cbranch_execz .LBB6_724
	s_branch .LBB6_728
	.p2align	6
.LBB6_727:                              ;   in Loop: Header=BB6_725 Depth=3
	s_trap 2
	ds_read_b64 v[8:9], v0
	s_andn2_b32 s26, s26, exec_lo
	s_mov_b32 s25, 0
	s_waitcnt lgkmcnt(0)
	s_waitcnt_vscnt null, 0x0
	flat_load_dword v1, v[8:9] glc dlc
	s_waitcnt vmcnt(0) lgkmcnt(0)
	buffer_gl1_inv
	buffer_gl0_inv
	v_cmp_eq_u32_e32 vcc_lo, 0, v1
	s_and_b32 s27, vcc_lo, exec_lo
	s_or_b32 s26, s26, s27
	s_mov_b32 s28, -1
	s_or_b32 s24, s24, exec_lo
	s_and_saveexec_b32 s27, s26
	s_cbranch_execz .LBB6_724
.LBB6_728:                              ;   in Loop: Header=BB6_725 Depth=3
	s_sleep 1
	s_trap 2
	ds_read_b64 v[8:9], v0
	s_waitcnt lgkmcnt(0)
	buffer_gl0_inv
	s_andn2_b32 s24, s24, exec_lo
	v_cmp_ge_u64_e32 vcc_lo, v[8:9], v[50:51]
	s_orn2_b32 s28, vcc_lo, exec_lo
	s_branch .LBB6_724
.LBB6_729:                              ;   in Loop: Header=BB6_668 Depth=2
	s_inst_prefetch 0x2
	s_or_b32 exec_lo, exec_lo, s22
	s_and_saveexec_b32 s22, s23
	s_xor_b32 s22, exec_lo, s22
	s_cbranch_execz .LBB6_731
; %bb.730:                              ;   in Loop: Header=BB6_668 Depth=2
	ds_write_b32 v0, v119
	s_trap 2
.LBB6_731:                              ;   in Loop: Header=BB6_668 Depth=2
	s_or_b32 exec_lo, exec_lo, s21
	;;#ASMSTART
	s_wakeup
	;;#ASMEND
.LBB6_732:                              ;   in Loop: Header=BB6_668 Depth=2
	s_or_b32 exec_lo, exec_lo, s20
.LBB6_733:                              ;   in Loop: Header=BB6_668 Depth=2
	s_andn2_saveexec_b32 s19, s19
	s_cbranch_execz .LBB6_735
; %bb.734:                              ;   in Loop: Header=BB6_668 Depth=2
	;;#ASMSTART
	s_waitcnt lgkmcnt(0) vmcnt(0)
	;;#ASMEND
	s_barrier
.LBB6_735:                              ;   in Loop: Header=BB6_668 Depth=2
	s_or_b32 exec_lo, exec_lo, s19
	v_and_b32_e32 v8, 16, v112
.LBB6_736:                              ;   in Loop: Header=BB6_668 Depth=2
	s_or_b32 exec_lo, exec_lo, s16
	v_cmp_ne_u32_e32 vcc_lo, 0, v8
	s_xor_b32 s16, s7, -1
	s_and_b32 s19, vcc_lo, s16
	s_and_saveexec_b32 s16, s19
	s_cbranch_execz .LBB6_738
; %bb.737:                              ;   in Loop: Header=BB6_668 Depth=2
	s_waitcnt vmcnt(0) lgkmcnt(0)
	s_waitcnt_vscnt null, 0x0
	flat_store_dword v[48:49], v119
.LBB6_738:                              ;   in Loop: Header=BB6_668 Depth=2
	s_or_b32 exec_lo, exec_lo, s16
	v_and_b32_e32 v1, 48, v112
	s_mov_b32 s16, exec_lo
	v_cmpx_ne_u32_e32 0, v1
	s_cbranch_execz .LBB6_667
; %bb.739:                              ;   in Loop: Header=BB6_668 Depth=2
	v_add_co_u32 v68, vcc_lo, v68, 2
	v_add_co_ci_u32_e64 v69, null, 0, v69, vcc_lo
	s_waitcnt vmcnt(0) lgkmcnt(0)
	s_waitcnt_vscnt null, 0x0
	flat_store_dwordx2 v[36:37], v[68:69]
	s_branch .LBB6_667
.LBB6_740:                              ;   in Loop: Header=BB6_47 Depth=1
	s_or_b32 exec_lo, exec_lo, s18
.LBB6_741:                              ;   in Loop: Header=BB6_47 Depth=1
	s_or_b32 exec_lo, exec_lo, s17
	s_andn2_b32 vcc_lo, exec_lo, s61
	s_cbranch_vccnz .LBB6_998
; %bb.742:                              ;   in Loop: Header=BB6_47 Depth=1
	s_mov_b32 s22, 1
.LBB6_743:                              ;   Parent Loop BB6_47 Depth=1
                                        ; =>  This Loop Header: Depth=2
                                        ;       Child Loop BB6_746 Depth 3
                                        ;         Child Loop BB6_754 Depth 4
                                        ;         Child Loop BB6_782 Depth 4
	;; [unrolled: 1-line block ×5, first 2 shown]
                                        ;           Child Loop BB6_834 Depth 5
                                        ;         Child Loop BB6_841 Depth 4
                                        ;         Child Loop BB6_846 Depth 4
                                        ;           Child Loop BB6_847 Depth 5
                                        ;         Child Loop BB6_859 Depth 4
                                        ;         Child Loop BB6_864 Depth 4
	;; [unrolled: 1-line block ×6, first 2 shown]
                                        ;       Child Loop BB6_923 Depth 3
                                        ;         Child Loop BB6_929 Depth 4
                                        ;         Child Loop BB6_957 Depth 4
	;; [unrolled: 1-line block ×3, first 2 shown]
	s_sub_i32 s16, s57, s22
	v_mov_b32_e32 v21, 0
	s_cmp_ge_i32 s16, s42
	s_mov_b32 s24, 0
	s_cselect_b32 s17, s42, 0
	s_sub_i32 s16, s16, s17
	s_ashr_i32 s17, s16, 31
	v_mul_lo_u32 v1, v67, s16
	v_mad_u64_u32 v[8:9], null, v66, s16, 0
	v_mul_lo_u32 v3, v66, s17
	v_add3_u32 v9, v9, v3, v1
	s_clause 0x1
	buffer_load_dword v3, off, s[0:3], s33 offset:188
	buffer_load_dword v4, off, s[0:3], s33 offset:192
	s_waitcnt vmcnt(1)
	v_sub_co_u32 v10, vcc_lo, v3, v8
	s_waitcnt vmcnt(0)
	v_sub_co_ci_u32_e64 v11, null, v4, v9, vcc_lo
	v_cmp_lt_i64_e32 vcc_lo, v[66:67], v[10:11]
	v_cndmask_b32_e32 v1, v10, v66, vcc_lo
	v_mov_b32_e32 v10, 0
	v_max_i32_e32 v3, 0, v1
	v_cmp_lt_i32_e32 vcc_lo, 0, v1
	v_add_nc_u32_e32 v4, 31, v3
	s_and_b32 s16, s72, vcc_lo
	v_lshrrev_b32_e32 v4, 1, v4
	v_and_b32_e32 v4, 0x3ffffff0, v4
	v_max_i32_e32 v12, s60, v4
	s_and_saveexec_b32 s23, s16
	s_cbranch_execz .LBB6_920
; %bb.744:                              ;   in Loop: Header=BB6_743 Depth=2
	v_add_co_u32 v22, vcc_lo, v8, v72
	v_add_co_ci_u32_e64 v23, null, v9, v73, vcc_lo
	v_mov_b32_e32 v21, 0
	s_mov_b32 s26, 1
	s_mov_b32 s25, -1
	s_branch .LBB6_746
.LBB6_745:                              ;   in Loop: Header=BB6_746 Depth=3
	s_or_b32 exec_lo, exec_lo, s16
	v_add_nc_u32_e32 v21, v12, v21
	s_xor_b32 s16, s25, -1
	v_mov_b32_e32 v10, s26
	s_mov_b32 s25, 0
	s_mov_b32 s26, 2
	v_cmp_ge_i32_e32 vcc_lo, v21, v3
	s_or_b32 s16, s16, vcc_lo
	s_and_b32 s16, exec_lo, s16
	s_or_b32 s24, s16, s24
	s_andn2_b32 exec_lo, exec_lo, s24
	s_cbranch_execz .LBB6_919
.LBB6_746:                              ;   Parent Loop BB6_47 Depth=1
                                        ;     Parent Loop BB6_743 Depth=2
                                        ; =>    This Loop Header: Depth=3
                                        ;         Child Loop BB6_754 Depth 4
                                        ;         Child Loop BB6_782 Depth 4
	;; [unrolled: 1-line block ×5, first 2 shown]
                                        ;           Child Loop BB6_834 Depth 5
                                        ;         Child Loop BB6_841 Depth 4
                                        ;         Child Loop BB6_846 Depth 4
                                        ;           Child Loop BB6_847 Depth 5
                                        ;         Child Loop BB6_859 Depth 4
                                        ;         Child Loop BB6_864 Depth 4
	;; [unrolled: 1-line block ×6, first 2 shown]
	s_and_saveexec_b32 s17, s4
	s_cbranch_execz .LBB6_748
; %bb.747:                              ;   in Loop: Header=BB6_746 Depth=3
	s_trap 2
	ds_read_b128 v[8:11], v0
	v_ashrrev_i32_e32 v1, 31, v21
	s_waitcnt lgkmcnt(0)
	v_add_co_u32 v4, vcc_lo, v10, v22
	v_add_co_ci_u32_e64 v5, null, v11, v23, vcc_lo
	v_add_co_u32 v8, vcc_lo, v8, v22
	v_add_co_ci_u32_e64 v9, null, v9, v23, vcc_lo
	;; [unrolled: 2-line block ×3, first 2 shown]
	v_cmp_ne_u64_e32 vcc_lo, 0, v[10:11]
	v_add_co_u32 v8, s16, v8, v21
	v_add_co_ci_u32_e64 v9, null, v9, v1, s16
	v_cndmask_b32_e32 v11, 0, v5, vcc_lo
	v_cndmask_b32_e32 v10, 0, v4, vcc_lo
	ds_write_b64 v0, v[8:9]
	ds_write_b64 v0, v[10:11]
.LBB6_748:                              ;   in Loop: Header=BB6_746 Depth=3
	s_or_b32 exec_lo, exec_lo, s17
	v_sub_nc_u32_e32 v1, v3, v21
	v_and_b32_e32 v4, 12, v112
	s_mov_b32 s17, exec_lo
	v_min_i32_e32 v12, v12, v1
	v_cmpx_ne_u32_e32 0, v4
	s_cbranch_execz .LBB6_774
; %bb.749:                              ;   in Loop: Header=BB6_746 Depth=3
	v_and_b32_e32 v17, 8, v112
	s_mov_b32 s18, exec_lo
	s_waitcnt vmcnt(0) lgkmcnt(1)
	v_add_co_u32 v10, vcc_lo, v52, v17
	v_add_co_ci_u32_e64 v11, null, 0, v53, vcc_lo
	v_add_co_u32 v8, vcc_lo, v68, 2
	v_add_co_ci_u32_e64 v9, null, 0, v69, vcc_lo
	v_cmpx_lt_u64_e64 v[10:11], v[8:9]
	s_cbranch_execz .LBB6_761
; %bb.750:                              ;   in Loop: Header=BB6_746 Depth=3
	v_and_b32_e32 v1, 64, v112
	s_mov_b32 s19, 0
	s_mov_b32 s28, 0
                                        ; implicit-def: $sgpr20
                                        ; implicit-def: $sgpr21
                                        ; implicit-def: $sgpr27
	v_cmp_eq_u32_e32 vcc_lo, 0, v1
	s_branch .LBB6_754
.LBB6_751:                              ;   in Loop: Header=BB6_754 Depth=4
	s_waitcnt vmcnt(0) lgkmcnt(0)
	v_add_co_u32 v13, s16, v52, v17
	v_add_co_ci_u32_e64 v14, null, 0, v53, s16
	s_or_b32 s77, s77, exec_lo
	v_cmp_ge_u64_e64 s16, v[13:14], v[8:9]
	s_orn2_b32 s76, s16, exec_lo
.LBB6_752:                              ;   in Loop: Header=BB6_754 Depth=4
	s_or_b32 exec_lo, exec_lo, s79
	s_andn2_b32 s16, s27, exec_lo
	s_and_b32 s27, s77, exec_lo
	s_andn2_b32 s21, s21, exec_lo
	s_and_b32 s76, s76, exec_lo
	s_or_b32 s27, s16, s27
	s_or_b32 s21, s21, s76
.LBB6_753:                              ;   in Loop: Header=BB6_754 Depth=4
	s_or_b32 exec_lo, exec_lo, s41
	s_and_b32 s16, exec_lo, s21
	s_or_b32 s19, s16, s19
	s_andn2_b32 s16, s20, exec_lo
	s_and_b32 s20, s27, exec_lo
	s_or_b32 s20, s16, s20
	s_andn2_b32 exec_lo, exec_lo, s19
	s_cbranch_execz .LBB6_758
.LBB6_754:                              ;   Parent Loop BB6_47 Depth=1
                                        ;     Parent Loop BB6_743 Depth=2
                                        ;       Parent Loop BB6_746 Depth=3
                                        ; =>      This Inner Loop Header: Depth=4
	s_sleep 1
	s_waitcnt vmcnt(0) lgkmcnt(0)
	flat_load_dwordx2 v[52:53], v[36:37] glc dlc
	s_or_b32 s27, s27, exec_lo
	s_or_b32 s21, s21, exec_lo
                                        ; implicit-def: $vgpr10
	s_and_saveexec_b32 s41, vcc_lo
	s_cbranch_execz .LBB6_753
; %bb.755:                              ;   in Loop: Header=BB6_754 Depth=4
	s_cmpk_lt_i32 s28, 0x270f
	s_mov_b32 s76, -1
	s_cselect_b32 s78, -1, 0
	s_cmpk_gt_i32 s28, 0x270e
	s_cbranch_scc0 .LBB6_757
; %bb.756:                              ;   in Loop: Header=BB6_754 Depth=4
	s_trap 2
	ds_read_b64 v[10:11], v0
	s_andn2_b32 s28, s78, exec_lo
	s_mov_b32 s77, 0
	s_waitcnt vmcnt(0) lgkmcnt(0)
	s_waitcnt_vscnt null, 0x0
	flat_load_dword v10, v[10:11] glc dlc
	s_waitcnt vmcnt(0) lgkmcnt(0)
	buffer_gl1_inv
	buffer_gl0_inv
	v_cmp_eq_u32_e64 s16, 0, v10
	s_and_b32 s16, s16, exec_lo
	s_or_b32 s78, s28, s16
	s_mov_b32 s28, 0
	s_and_saveexec_b32 s79, s78
	s_cbranch_execz .LBB6_752
	s_branch .LBB6_751
.LBB6_757:                              ;   in Loop: Header=BB6_754 Depth=4
	s_add_i32 s28, s28, 1
	s_mov_b32 s77, -1
                                        ; implicit-def: $vgpr10
	s_and_saveexec_b32 s79, s78
	s_cbranch_execz .LBB6_752
	s_branch .LBB6_751
.LBB6_758:                              ;   in Loop: Header=BB6_746 Depth=3
	s_or_b32 exec_lo, exec_lo, s19
	s_xor_b32 s16, s20, -1
	s_and_saveexec_b32 s19, s16
	s_xor_b32 s16, exec_lo, s19
	s_cbranch_execz .LBB6_760
; %bb.759:                              ;   in Loop: Header=BB6_746 Depth=3
	v_or_b32_e32 v112, 64, v112
	s_waitcnt vmcnt(0) lgkmcnt(0)
	s_waitcnt_vscnt null, 0x0
	ds_write_b32 v0, v10
	s_trap 2
.LBB6_760:                              ;   in Loop: Header=BB6_746 Depth=3
	s_or_b32 exec_lo, exec_lo, s16
.LBB6_761:                              ;   in Loop: Header=BB6_746 Depth=3
	s_or_b32 exec_lo, exec_lo, s18
	v_and_b32_e32 v1, 0x108, v112
	s_mov_b32 s16, exec_lo
	;;#ASMSTART
	s_wakeup
	;;#ASMEND
                                        ; implicit-def: $vgpr10_vgpr11
	v_cmpx_ne_u32_e32 0x108, v1
	s_xor_b32 s16, exec_lo, s16
; %bb.762:                              ;   in Loop: Header=BB6_746 Depth=3
	v_and_b32_e32 v10, 7, v68
	v_mov_b32_e32 v11, v2
                                        ; implicit-def: $vgpr68_vgpr69
; %bb.763:                              ;   in Loop: Header=BB6_746 Depth=3
	s_andn2_saveexec_b32 s16, s16
	s_cbranch_execz .LBB6_765
; %bb.764:                              ;   in Loop: Header=BB6_746 Depth=3
	v_and_b32_e32 v10, 7, v68
	v_ashrrev_i32_e32 v13, 31, v12
	v_mov_b32_e32 v11, v2
	v_mad_u64_u32 v[14:15], null, v10, 24, v[6:7]
	flat_store_dwordx2 v[14:15], v[12:13] offset:8
.LBB6_765:                              ;   in Loop: Header=BB6_746 Depth=3
	s_or_b32 exec_lo, exec_lo, s16
	v_and_b32_e32 v1, 0x100, v112
	s_mov_b32 s16, -1
	s_mov_b32 s18, exec_lo
                                        ; implicit-def: $vgpr13_vgpr14
	v_cmpx_ne_u32_e32 0, v1
	s_cbranch_execz .LBB6_769
; %bb.766:                              ;   in Loop: Header=BB6_746 Depth=3
	v_mad_u64_u32 v[15:16], null, v10, 24, v[6:7]
	s_mov_b32 s19, exec_lo
	v_mov_b32_e32 v13, v16
	v_mad_u64_u32 v[13:14], null, v11, 24, v[13:14]
	v_mov_b32_e32 v16, v13
                                        ; implicit-def: $vgpr13_vgpr14
	flat_load_dword v1, v[15:16]
	s_waitcnt vmcnt(0) lgkmcnt(0)
	v_cmp_ne_u32_e32 vcc_lo, 1, v1
	v_cmpx_eq_u32_e32 1, v1
	s_cbranch_execz .LBB6_768
; %bb.767:                              ;   in Loop: Header=BB6_746 Depth=3
	flat_load_dword v13, v[15:16] offset:4 glc dlc
	s_waitcnt vmcnt(0) lgkmcnt(0)
	v_ashrrev_i32_e32 v14, 31, v13
.LBB6_768:                              ;   in Loop: Header=BB6_746 Depth=3
	s_or_b32 exec_lo, exec_lo, s19
	s_orn2_b32 s16, vcc_lo, exec_lo
.LBB6_769:                              ;   in Loop: Header=BB6_746 Depth=3
	s_or_b32 exec_lo, exec_lo, s18
	s_and_saveexec_b32 s18, s16
; %bb.770:                              ;   in Loop: Header=BB6_746 Depth=3
	v_mul_lo_u32 v1, v11, v113
	v_mul_lo_u32 v4, v10, v114
	v_mad_u64_u32 v[13:14], null, v10, v113, 0
	v_add3_u32 v14, v14, v4, v1
; %bb.771:                              ;   in Loop: Header=BB6_746 Depth=3
	s_or_b32 exec_lo, exec_lo, s18
	v_cmp_eq_u32_e32 vcc_lo, 0, v17
	v_and_b32_e32 v4, 0x2000, v112
	s_mov_b32 s16, exec_lo
	v_cndmask_b32_e32 v1, 0xd0, v41, vcc_lo
	v_add_co_u32 v10, vcc_lo, v38, v13
	v_add_co_ci_u32_e64 v11, null, v39, v14, vcc_lo
	v_add_nc_u32_e32 v1, v0, v1
	ds_write_b64 v1, v[10:11] offset:584
	v_cmpx_ne_u32_e32 0, v4
	s_cbranch_execz .LBB6_773
; %bb.772:                              ;   in Loop: Header=BB6_746 Depth=3
	ds_read_b64 v[10:11], v0 offset:872
	s_waitcnt lgkmcnt(0)
	v_add_co_u32 v10, vcc_lo, v10, 1
	v_add_co_ci_u32_e64 v11, null, 0, v11, vcc_lo
	ds_write_b64 v0, v[10:11] offset:872
.LBB6_773:                              ;   in Loop: Header=BB6_746 Depth=3
	s_or_b32 exec_lo, exec_lo, s16
	v_mov_b32_e32 v69, v9
	v_mov_b32_e32 v68, v8
.LBB6_774:                              ;   in Loop: Header=BB6_746 Depth=3
	s_or_b32 exec_lo, exec_lo, s17
	s_and_saveexec_b32 s16, s6
	s_cbranch_execz .LBB6_793
; %bb.775:                              ;   in Loop: Header=BB6_746 Depth=3
	s_and_saveexec_b32 s17, s46
	s_xor_b32 s17, exec_lo, s17
	s_cbranch_execz .LBB6_790
; %bb.776:                              ;   in Loop: Header=BB6_746 Depth=3
	s_and_saveexec_b32 s18, s11
	s_cbranch_execz .LBB6_789
; %bb.777:                              ;   in Loop: Header=BB6_746 Depth=3
	s_mov_b32 s20, exec_lo
	s_mov_b32 s19, exec_lo
	v_mbcnt_lo_u32_b32 v1, s20, 0
	s_waitcnt vmcnt(0) lgkmcnt(0)
	s_waitcnt_vscnt null, 0x0
	buffer_gl1_inv
	buffer_gl0_inv
	v_cmpx_eq_u32_e32 0, v1
	s_cbranch_execz .LBB6_779
; %bb.778:                              ;   in Loop: Header=BB6_746 Depth=3
	s_bcnt1_i32_b32 s20, s20
	v_mov_b32_e32 v9, v2
	v_mov_b32_e32 v8, s20
	ds_add_u64 v0, v[8:9]
	s_trap 2
.LBB6_779:                              ;   in Loop: Header=BB6_746 Depth=3
	s_or_b32 exec_lo, exec_lo, s19
	s_trap 2
	ds_read_b64 v[8:9], v0
	s_waitcnt lgkmcnt(0)
	buffer_gl0_inv
	v_add_co_u32 v50, vcc_lo, v50, v115
	v_add_co_ci_u32_e64 v51, null, 0, v51, vcc_lo
	s_mov_b32 s19, exec_lo
	v_cmpx_lt_u64_e64 v[8:9], v[50:51]
	s_cbranch_execz .LBB6_788
; %bb.780:                              ;   in Loop: Header=BB6_746 Depth=3
	s_mov_b32 s20, 0
	s_mov_b32 s28, 0
                                        ; implicit-def: $sgpr21
                                        ; implicit-def: $sgpr27
	s_inst_prefetch 0x1
	s_branch .LBB6_782
	.p2align	6
.LBB6_781:                              ;   in Loop: Header=BB6_782 Depth=4
	s_or_b32 exec_lo, exec_lo, s76
	s_and_b32 s41, exec_lo, s77
	s_or_b32 s20, s41, s20
	s_andn2_b32 s21, s21, exec_lo
	s_and_b32 s41, s27, exec_lo
	s_or_b32 s21, s21, s41
	s_andn2_b32 exec_lo, exec_lo, s20
	s_cbranch_execz .LBB6_786
.LBB6_782:                              ;   Parent Loop BB6_47 Depth=1
                                        ;     Parent Loop BB6_743 Depth=2
                                        ;       Parent Loop BB6_746 Depth=3
                                        ; =>      This Inner Loop Header: Depth=4
	s_add_i32 s28, s28, 1
	s_cmpk_lg_i32 s28, 0x2710
	s_cselect_b32 s41, -1, 0
	s_and_b32 vcc_lo, exec_lo, s41
	s_cbranch_vccz .LBB6_784
; %bb.783:                              ;   in Loop: Header=BB6_782 Depth=4
	s_mov_b32 s77, -1
	s_or_b32 s27, s27, exec_lo
	s_and_saveexec_b32 s76, s41
	s_cbranch_execz .LBB6_781
	s_branch .LBB6_785
	.p2align	6
.LBB6_784:                              ;   in Loop: Header=BB6_782 Depth=4
	s_trap 2
	ds_read_b64 v[8:9], v0
	s_andn2_b32 s41, s41, exec_lo
	s_mov_b32 s28, 0
	s_waitcnt lgkmcnt(0)
	flat_load_dword v1, v[8:9] glc dlc
	s_waitcnt vmcnt(0) lgkmcnt(0)
	buffer_gl1_inv
	buffer_gl0_inv
	v_cmp_eq_u32_e32 vcc_lo, 0, v1
	s_and_b32 s76, vcc_lo, exec_lo
	s_or_b32 s41, s41, s76
	s_mov_b32 s77, -1
	s_or_b32 s27, s27, exec_lo
	s_and_saveexec_b32 s76, s41
	s_cbranch_execz .LBB6_781
.LBB6_785:                              ;   in Loop: Header=BB6_782 Depth=4
	s_sleep 1
	s_trap 2
	ds_read_b64 v[8:9], v0
	s_waitcnt lgkmcnt(0)
	buffer_gl0_inv
	s_andn2_b32 s27, s27, exec_lo
	v_cmp_ge_u64_e32 vcc_lo, v[8:9], v[50:51]
	s_orn2_b32 s77, vcc_lo, exec_lo
	s_branch .LBB6_781
.LBB6_786:                              ;   in Loop: Header=BB6_746 Depth=3
	s_inst_prefetch 0x2
	s_or_b32 exec_lo, exec_lo, s20
	s_and_saveexec_b32 s20, s21
	s_xor_b32 s20, exec_lo, s20
	s_cbranch_execz .LBB6_788
; %bb.787:                              ;   in Loop: Header=BB6_746 Depth=3
	ds_write_b32 v0, v119
	s_trap 2
.LBB6_788:                              ;   in Loop: Header=BB6_746 Depth=3
	s_or_b32 exec_lo, exec_lo, s19
	;;#ASMSTART
	s_wakeup
	;;#ASMEND
.LBB6_789:                              ;   in Loop: Header=BB6_746 Depth=3
	s_or_b32 exec_lo, exec_lo, s18
.LBB6_790:                              ;   in Loop: Header=BB6_746 Depth=3
	s_andn2_saveexec_b32 s17, s17
	s_cbranch_execz .LBB6_792
; %bb.791:                              ;   in Loop: Header=BB6_746 Depth=3
	s_waitcnt vmcnt(0) lgkmcnt(0)
	s_waitcnt_vscnt null, 0x0
	buffer_gl1_inv
	buffer_gl0_inv
	s_barrier
.LBB6_792:                              ;   in Loop: Header=BB6_746 Depth=3
	s_or_b32 exec_lo, exec_lo, s17
.LBB6_793:                              ;   in Loop: Header=BB6_746 Depth=3
	s_or_b32 exec_lo, exec_lo, s16
	s_trap 2
	ds_read_b32 v8, v0
	v_and_b32_e32 v1, 0x4000, v112
	s_xor_b32 s16, s5, -1
	v_cmp_ne_u32_e32 vcc_lo, 0, v1
	s_and_b32 s17, s16, vcc_lo
	s_and_saveexec_b32 s16, s17
	s_cbranch_execz .LBB6_812
; %bb.794:                              ;   in Loop: Header=BB6_746 Depth=3
	s_and_saveexec_b32 s17, s46
	s_xor_b32 s17, exec_lo, s17
	s_cbranch_execz .LBB6_809
; %bb.795:                              ;   in Loop: Header=BB6_746 Depth=3
	s_and_saveexec_b32 s18, s11
	s_cbranch_execz .LBB6_808
; %bb.796:                              ;   in Loop: Header=BB6_746 Depth=3
	s_mov_b32 s20, exec_lo
	s_mov_b32 s19, exec_lo
	v_mbcnt_lo_u32_b32 v1, s20, 0
	s_waitcnt vmcnt(0) lgkmcnt(0)
	s_waitcnt_vscnt null, 0x0
	buffer_gl1_inv
	buffer_gl0_inv
	v_cmpx_eq_u32_e32 0, v1
	s_cbranch_execz .LBB6_798
; %bb.797:                              ;   in Loop: Header=BB6_746 Depth=3
	s_bcnt1_i32_b32 s20, s20
	v_mov_b32_e32 v10, v2
	v_mov_b32_e32 v9, s20
	ds_add_u64 v0, v[9:10]
	s_trap 2
.LBB6_798:                              ;   in Loop: Header=BB6_746 Depth=3
	s_or_b32 exec_lo, exec_lo, s19
	s_trap 2
	ds_read_b64 v[9:10], v0
	s_waitcnt lgkmcnt(0)
	buffer_gl0_inv
	v_add_co_u32 v50, vcc_lo, v50, v115
	v_add_co_ci_u32_e64 v51, null, 0, v51, vcc_lo
	s_mov_b32 s19, exec_lo
	v_cmpx_lt_u64_e64 v[9:10], v[50:51]
	s_cbranch_execz .LBB6_807
; %bb.799:                              ;   in Loop: Header=BB6_746 Depth=3
	s_mov_b32 s20, 0
	s_mov_b32 s28, 0
                                        ; implicit-def: $sgpr21
                                        ; implicit-def: $sgpr27
	s_inst_prefetch 0x1
	s_branch .LBB6_801
	.p2align	6
.LBB6_800:                              ;   in Loop: Header=BB6_801 Depth=4
	s_or_b32 exec_lo, exec_lo, s76
	s_and_b32 s41, exec_lo, s77
	s_or_b32 s20, s41, s20
	s_andn2_b32 s21, s21, exec_lo
	s_and_b32 s41, s27, exec_lo
	s_or_b32 s21, s21, s41
	s_andn2_b32 exec_lo, exec_lo, s20
	s_cbranch_execz .LBB6_805
.LBB6_801:                              ;   Parent Loop BB6_47 Depth=1
                                        ;     Parent Loop BB6_743 Depth=2
                                        ;       Parent Loop BB6_746 Depth=3
                                        ; =>      This Inner Loop Header: Depth=4
	s_add_i32 s28, s28, 1
	s_cmpk_lg_i32 s28, 0x2710
	s_cselect_b32 s41, -1, 0
	s_and_b32 vcc_lo, exec_lo, s41
	s_cbranch_vccz .LBB6_803
; %bb.802:                              ;   in Loop: Header=BB6_801 Depth=4
	s_mov_b32 s77, -1
	s_or_b32 s27, s27, exec_lo
	s_and_saveexec_b32 s76, s41
	s_cbranch_execz .LBB6_800
	s_branch .LBB6_804
	.p2align	6
.LBB6_803:                              ;   in Loop: Header=BB6_801 Depth=4
	s_trap 2
	ds_read_b64 v[9:10], v0
	s_andn2_b32 s41, s41, exec_lo
	s_mov_b32 s28, 0
	s_waitcnt lgkmcnt(0)
	flat_load_dword v1, v[9:10] glc dlc
	s_waitcnt vmcnt(0) lgkmcnt(0)
	buffer_gl1_inv
	buffer_gl0_inv
	v_cmp_eq_u32_e32 vcc_lo, 0, v1
	s_and_b32 s76, vcc_lo, exec_lo
	s_or_b32 s41, s41, s76
	s_mov_b32 s77, -1
	s_or_b32 s27, s27, exec_lo
	s_and_saveexec_b32 s76, s41
	s_cbranch_execz .LBB6_800
.LBB6_804:                              ;   in Loop: Header=BB6_801 Depth=4
	s_sleep 1
	s_trap 2
	ds_read_b64 v[9:10], v0
	s_waitcnt lgkmcnt(0)
	buffer_gl0_inv
	s_andn2_b32 s27, s27, exec_lo
	v_cmp_ge_u64_e32 vcc_lo, v[9:10], v[50:51]
	s_orn2_b32 s77, vcc_lo, exec_lo
	s_branch .LBB6_800
.LBB6_805:                              ;   in Loop: Header=BB6_746 Depth=3
	s_inst_prefetch 0x2
	s_or_b32 exec_lo, exec_lo, s20
	s_and_saveexec_b32 s20, s21
	s_xor_b32 s20, exec_lo, s20
	s_cbranch_execz .LBB6_807
; %bb.806:                              ;   in Loop: Header=BB6_746 Depth=3
	ds_write_b32 v0, v119
	s_trap 2
.LBB6_807:                              ;   in Loop: Header=BB6_746 Depth=3
	s_or_b32 exec_lo, exec_lo, s19
	;;#ASMSTART
	s_wakeup
	;;#ASMEND
.LBB6_808:                              ;   in Loop: Header=BB6_746 Depth=3
	s_or_b32 exec_lo, exec_lo, s18
.LBB6_809:                              ;   in Loop: Header=BB6_746 Depth=3
	s_andn2_saveexec_b32 s17, s17
	s_cbranch_execz .LBB6_811
; %bb.810:                              ;   in Loop: Header=BB6_746 Depth=3
	s_waitcnt vmcnt(0) lgkmcnt(0)
	s_waitcnt_vscnt null, 0x0
	buffer_gl1_inv
	buffer_gl0_inv
	s_barrier
.LBB6_811:                              ;   in Loop: Header=BB6_746 Depth=3
	s_or_b32 exec_lo, exec_lo, s17
.LBB6_812:                              ;   in Loop: Header=BB6_746 Depth=3
	s_or_b32 exec_lo, exec_lo, s16
	s_trap 2
	ds_read_b64 v[13:14], v0
	s_waitcnt lgkmcnt(0)
	v_cmp_eq_u64_e32 vcc_lo, 0, v[13:14]
	s_cbranch_vccnz .LBB6_821
; %bb.813:                              ;   in Loop: Header=BB6_746 Depth=3
	s_trap 2
	ds_read_b64 v[15:16], v0
	s_waitcnt lgkmcnt(0)
	v_cmp_eq_u64_e32 vcc_lo, 0, v[15:16]
	s_cbranch_vccnz .LBB6_821
; %bb.814:                              ;   in Loop: Header=BB6_746 Depth=3
	s_trap 2
	ds_read_b64 v[17:18], v0
	v_cmp_eq_u32_e64 s16, 0, v8
	v_cndmask_b32_e64 v24, 0, v12, s16
	s_mov_b32 s16, -1
	s_waitcnt lgkmcnt(0)
	v_cmp_ne_u64_e32 vcc_lo, 0, v[17:18]
	s_cbranch_vccz .LBB6_850
; %bb.815:                              ;   in Loop: Header=BB6_746 Depth=3
	s_and_saveexec_b32 s17, s13
	s_cbranch_execz .LBB6_817
; %bb.816:                              ;   in Loop: Header=BB6_746 Depth=3
	ds_read_b32 v1, v0 offset:720
	s_waitcnt lgkmcnt(0)
	v_and_b32_e32 v1, 15, v1
	v_cmp_eq_u32_e32 vcc_lo, 0, v1
	s_orn2_b32 s16, vcc_lo, exec_lo
.LBB6_817:                              ;   in Loop: Header=BB6_746 Depth=3
	s_or_b32 exec_lo, exec_lo, s17
	s_and_saveexec_b32 s17, s14
	s_cbranch_execz .LBB6_819
; %bb.818:                              ;   in Loop: Header=BB6_746 Depth=3
	ds_read_b32 v1, v0 offset:784
	s_waitcnt lgkmcnt(0)
	v_and_b32_e32 v1, 15, v1
	v_cmp_eq_u32_e32 vcc_lo, 0, v1
	s_and_b32 s18, s16, vcc_lo
	s_andn2_b32 s16, s16, exec_lo
	s_and_b32 s18, s18, exec_lo
	s_or_b32 s16, s16, s18
.LBB6_819:                              ;   in Loop: Header=BB6_746 Depth=3
	s_or_b32 exec_lo, exec_lo, s17
	s_xor_b32 s16, s16, -1
	v_mov_b32_e32 v19, 0
	v_cndmask_b32_e64 v1, 0, 1, s16
	v_mov_b32_e32 v20, v24
	v_mov_b32_e32 v25, v0
	s_mov_b32 s16, -1
	v_cmp_ne_u32_e32 vcc_lo, 0, v1
	s_cbranch_vccz .LBB6_826
; %bb.820:                              ;   in Loop: Header=BB6_746 Depth=3
	s_and_saveexec_b32 s20, s16
	s_cbranch_execnz .LBB6_839
	s_branch .LBB6_849
.LBB6_821:                              ;   in Loop: Header=BB6_746 Depth=3
	s_mov_b32 s16, 0
	s_and_saveexec_b32 s17, s6
	s_cbranch_execnz .LBB6_878
.LBB6_822:                              ;   in Loop: Header=BB6_746 Depth=3
	s_or_b32 exec_lo, exec_lo, s17
                                        ; implicit-def: $vgpr8
	s_and_saveexec_b32 s17, s15
	s_xor_b32 s17, exec_lo, s17
	s_cbranch_execz .LBB6_896
.LBB6_823:                              ;   in Loop: Header=BB6_746 Depth=3
	v_and_b32_e32 v1, 16, v112
	v_and_b32_e32 v8, 16, v112
	v_cmp_ne_u32_e32 vcc_lo, 0, v1
	s_and_b32 s18, vcc_lo, s16
	s_and_saveexec_b32 s16, s18
	s_cbranch_execz .LBB6_825
; %bb.824:                              ;   in Loop: Header=BB6_746 Depth=3
	v_mov_b32_e32 v8, 1
	s_waitcnt vmcnt(0) lgkmcnt(0)
	s_waitcnt_vscnt null, 0x0
	buffer_gl1_inv
	buffer_gl0_inv
.LBB6_825:                              ;   in Loop: Header=BB6_746 Depth=3
	s_or_b32 exec_lo, exec_lo, s16
	s_andn2_saveexec_b32 s16, s17
	s_cbranch_execz .LBB6_915
	s_branch .LBB6_897
.LBB6_826:                              ;   in Loop: Header=BB6_746 Depth=3
	v_ashrrev_i32_e32 v1, 31, v24
	s_mov_b32 s17, exec_lo
	v_lshrrev_b32_e32 v1, 21, v1
	v_add_nc_u32_e32 v1, v24, v1
	v_ashrrev_i32_e32 v25, 11, v1
	v_sub_nc_u32_e32 v27, v25, v117
	v_cmpx_lt_i32_e32 0, v27
	s_cbranch_execz .LBB6_830
; %bb.827:                              ;   in Loop: Header=BB6_746 Depth=3
	buffer_load_dword v1, off, s[0:3], s33 offset:196 ; 4-byte Folded Reload
	s_mov_b32 s18, 0
	s_waitcnt vmcnt(0)
	v_add_co_u32 v8, vcc_lo, v13, v1
	v_add_co_ci_u32_e64 v9, null, 0, v14, vcc_lo
	v_add_co_u32 v10, vcc_lo, v15, v1
	v_add_co_ci_u32_e64 v11, null, 0, v16, vcc_lo
	;; [unrolled: 2-line block ×3, first 2 shown]
	s_inst_prefetch 0x1
	.p2align	6
.LBB6_828:                              ;   Parent Loop BB6_47 Depth=1
                                        ;     Parent Loop BB6_743 Depth=2
                                        ;       Parent Loop BB6_746 Depth=3
                                        ; =>      This Inner Loop Header: Depth=4
	s_clause 0x3
	global_load_dwordx4 v[32:35], v[8:9], off slc
	global_load_dwordx4 v[80:83], v[8:9], off offset:512 slc
	global_load_dwordx4 v[84:87], v[8:9], off offset:1024 slc
	;; [unrolled: 1-line block ×3, first 2 shown]
	v_sub_nc_u32_e32 v27, v27, v115
	v_add_co_u32 v8, vcc_lo, v8, v45
	v_add_co_ci_u32_e64 v9, null, 0, v9, vcc_lo
	v_cmp_gt_i32_e32 vcc_lo, 1, v27
	s_waitcnt vmcnt(3)
	global_store_dwordx4 v[10:11], v[32:35], off glc slc
	s_waitcnt vmcnt(2)
	global_store_dwordx4 v[10:11], v[80:83], off offset:512 glc slc
	s_waitcnt vmcnt(1)
	global_store_dwordx4 v[10:11], v[84:87], off offset:1024 glc slc
	;; [unrolled: 2-line block ×3, first 2 shown]
	global_store_dwordx4 v[19:20], v[32:35], off glc slc
	global_store_dwordx4 v[19:20], v[80:83], off offset:512 glc slc
	global_store_dwordx4 v[19:20], v[84:87], off offset:1024 glc slc
	;; [unrolled: 1-line block ×3, first 2 shown]
	v_add_co_u32 v10, s16, v10, v45
	v_add_co_ci_u32_e64 v11, null, 0, v11, s16
	v_add_co_u32 v19, s16, v19, v45
	v_add_co_ci_u32_e64 v20, null, 0, v20, s16
	s_or_b32 s18, vcc_lo, s18
	s_andn2_b32 exec_lo, exec_lo, s18
	s_cbranch_execnz .LBB6_828
; %bb.829:                              ;   in Loop: Header=BB6_746 Depth=3
	s_inst_prefetch 0x2
	s_or_b32 exec_lo, exec_lo, s18
.LBB6_830:                              ;   in Loop: Header=BB6_746 Depth=3
	s_or_b32 exec_lo, exec_lo, s17
	v_lshlrev_b32_e32 v26, 11, v25
	v_mov_b32_e32 v19, 0
	s_mov_b32 s16, 0
	s_mov_b32 s19, exec_lo
                                        ; implicit-def: $vgpr20
                                        ; implicit-def: $vgpr25
	v_cmpx_ne_u32_e64 v24, v26
	s_cbranch_execz .LBB6_838
; %bb.831:                              ;   in Loop: Header=BB6_746 Depth=3
	v_lshlrev_b32_e32 v1, 5, v27
	v_sub_nc_u32_e32 v5, v24, v26
	s_mov_b32 s27, exec_lo
	v_sub_nc_u32_e32 v1, v47, v1
	v_ashrrev_i32_e32 v8, 31, v5
	v_ashrrev_i32_e32 v4, 31, v1
	v_lshrrev_b32_e32 v8, 23, v8
	v_lshrrev_b32_e32 v4, 27, v4
	v_add_nc_u32_e32 v8, v5, v8
	v_add_nc_u32_e32 v4, v1, v4
	v_and_b32_e32 v27, 0xfffffe00, v8
	v_and_b32_e32 v9, 0xffffffe0, v4
	v_sub_nc_u32_e32 v30, v5, v27
	v_sub_nc_u32_e32 v25, v1, v9
	v_ashrrev_i32_e32 v1, 5, v4
	v_ashrrev_i32_e32 v9, 9, v8
	v_cmp_lt_i32_e64 s16, 15, v30
	v_lshlrev_b32_e32 v4, 4, v25
	v_lshl_add_u32 v8, v1, 9, v4
	v_add_co_ci_u32_e64 v4, null, 0, v9, s16
	v_sub_nc_u32_e32 v33, v5, v8
	v_sub_nc_u32_e32 v32, v4, v1
	v_cmpx_lt_i32_e32 15, v33
	s_cbranch_execz .LBB6_837
; %bb.832:                              ;   in Loop: Header=BB6_746 Depth=3
	v_add_nc_u32_e32 v1, v8, v26
	s_mov_b32 s28, 0
	v_ashrrev_i32_e32 v4, 31, v1
	v_add_co_u32 v19, vcc_lo, v1, v13
	v_add_co_ci_u32_e64 v20, null, v4, v14, vcc_lo
	v_add_co_u32 v34, vcc_lo, v1, v15
	v_add_co_ci_u32_e64 v35, null, v4, v16, vcc_lo
	;; [unrolled: 2-line block ×3, first 2 shown]
	s_inst_prefetch 0x1
	.p2align	6
.LBB6_833:                              ;   Parent Loop BB6_47 Depth=1
                                        ;     Parent Loop BB6_743 Depth=2
                                        ;       Parent Loop BB6_746 Depth=3
                                        ; =>      This Loop Header: Depth=4
                                        ;           Child Loop BB6_834 Depth 5
	global_load_dwordx4 v[8:11], v[19:20], off slc
	s_mov_b64 s[20:21], 0
	s_mov_b32 s41, -1
	.p2align	6
.LBB6_834:                              ;   Parent Loop BB6_47 Depth=1
                                        ;     Parent Loop BB6_743 Depth=2
                                        ;       Parent Loop BB6_746 Depth=3
                                        ;         Parent Loop BB6_833 Depth=4
                                        ; =>        This Inner Loop Header: Depth=5
	s_cmp_eq_u32 s20, 1
	s_cselect_b32 vcc_lo, -1, 0
	s_cmp_eq_u32 s20, 0
	v_cndmask_b32_e32 v82, v34, v80, vcc_lo
	v_cndmask_b32_e32 v83, v35, v81, vcc_lo
	s_mov_b64 s[20:21], 1
	v_add_co_u32 v1, s17, 0x200, v82
	v_add_co_ci_u32_e64 v4, null, 0, v83, s17
	s_cselect_b32 s17, -1, 0
	v_cndmask_b32_e32 v80, v80, v1, vcc_lo
	v_cndmask_b32_e64 v34, v34, v1, s17
	v_cndmask_b32_e32 v81, v81, v4, vcc_lo
	v_cndmask_b32_e64 v35, v35, v4, s17
	s_and_b32 s18, exec_lo, s41
	s_mov_b32 s41, 0
	s_mov_b32 vcc_lo, s18
	s_waitcnt vmcnt(0)
	global_store_dwordx4 v[82:83], v[8:11], off glc slc
	s_cbranch_vccnz .LBB6_834
; %bb.835:                              ;   in Loop: Header=BB6_833 Depth=4
	v_sub_nc_u32_e32 v33, v33, v43
	v_add_co_u32 v34, vcc_lo, v34, v56
	v_add_co_ci_u32_e64 v35, null, v35, v59, vcc_lo
	v_add_co_u32 v80, vcc_lo, v80, v56
	v_add_co_ci_u32_e64 v81, null, v81, v59, vcc_lo
	v_cmp_gt_i32_e32 vcc_lo, 16, v33
	v_add_co_u32 v19, s17, v62, v19
	v_add_co_ci_u32_e64 v20, null, v63, v20, s17
	v_sub_nc_u32_e32 v32, v32, v115
	s_or_b32 s28, vcc_lo, s28
	s_andn2_b32 exec_lo, exec_lo, s28
	s_cbranch_execnz .LBB6_833
; %bb.836:                              ;   in Loop: Header=BB6_746 Depth=3
	s_inst_prefetch 0x2
	s_or_b32 exec_lo, exec_lo, s28
.LBB6_837:                              ;   in Loop: Header=BB6_746 Depth=3
	s_or_b32 exec_lo, exec_lo, s27
	v_and_b32_e32 v1, 15, v24
	v_cmp_lt_i32_e32 vcc_lo, 0, v32
	v_sub_nc_u32_e32 v4, v30, v1
	v_cndmask_b32_e32 v5, 0, v115, vcc_lo
	v_cndmask_b32_e64 v20, v30, v1, s16
	v_cndmask_b32_e64 v1, 0, v4, s16
	v_sub_nc_u32_e32 v4, v5, v32
	v_cmp_ne_u32_e32 vcc_lo, 0, v20
	v_add3_u32 v19, v27, v26, v1
	v_lshl_add_u32 v25, v4, 5, v25
	s_and_b32 s16, vcc_lo, exec_lo
.LBB6_838:                              ;   in Loop: Header=BB6_746 Depth=3
	s_or_b32 exec_lo, exec_lo, s19
	s_and_saveexec_b32 s20, s16
	s_cbranch_execz .LBB6_849
.LBB6_839:                              ;   in Loop: Header=BB6_746 Depth=3
	v_ashrrev_i32_e32 v1, 31, v25
	v_ashrrev_i32_e32 v4, 31, v20
	s_mov_b32 s16, exec_lo
	v_lshrrev_b32_e32 v1, 27, v1
	v_lshrrev_b32_e32 v4, 22, v4
	v_add_nc_u32_e32 v8, v25, v1
	v_add_nc_u32_e32 v1, v20, v4
	v_ashrrev_i32_e32 v26, 5, v8
	v_ashrrev_i32_e32 v80, 10, v1
	v_sub_nc_u32_e32 v27, v80, v26
	v_cmpx_lt_i32_e32 0, v27
	s_cbranch_execz .LBB6_843
; %bb.840:                              ;   in Loop: Header=BB6_746 Depth=3
	v_and_b32_e32 v1, 0xffffffe0, v8
	v_lshlrev_b32_e32 v4, 10, v26
	v_add_co_u32 v5, vcc_lo, 0x3e0, v13
	v_add_co_ci_u32_e64 v28, null, 0, v14, vcc_lo
	v_sub_nc_u32_e32 v1, v25, v1
	s_mov_b32 s17, 0
	v_add3_u32 v1, v19, v1, v4
	v_ashrrev_i32_e32 v4, 31, v1
	v_add_co_u32 v8, vcc_lo, v1, v15
	v_add_co_ci_u32_e64 v9, null, v4, v16, vcc_lo
	v_add_co_u32 v10, vcc_lo, v1, v17
	v_add_co_ci_u32_e64 v11, null, v4, v18, vcc_lo
	v_add_co_u32 v17, vcc_lo, v5, v1
	v_add_co_ci_u32_e64 v18, null, v28, v4, vcc_lo
.LBB6_841:                              ;   Parent Loop BB6_47 Depth=1
                                        ;     Parent Loop BB6_743 Depth=2
                                        ;       Parent Loop BB6_746 Depth=3
                                        ; =>      This Inner Loop Header: Depth=4
	v_add_co_u32 v32, vcc_lo, 0xfffffc20, v17
	v_add_co_ci_u32_e64 v33, null, -1, v18, vcc_lo
	v_sub_nc_u32_e32 v27, v27, v115
	flat_load_ubyte v81, v[32:33] slc
	v_add_co_u32 v32, vcc_lo, 0xfffffc40, v17
	v_add_co_ci_u32_e64 v33, null, -1, v18, vcc_lo
	flat_load_ubyte v82, v[32:33] slc
	v_add_co_u32 v32, vcc_lo, 0xfffffc60, v17
	v_add_co_ci_u32_e64 v33, null, -1, v18, vcc_lo
	flat_load_ubyte v83, v[32:33] slc
	v_add_co_u32 v32, vcc_lo, 0xfffffc80, v17
	v_add_co_ci_u32_e64 v33, null, -1, v18, vcc_lo
	flat_load_ubyte v84, v[32:33] slc
	v_add_co_u32 v32, vcc_lo, 0xfffffca0, v17
	v_add_co_ci_u32_e64 v33, null, -1, v18, vcc_lo
	flat_load_ubyte v85, v[32:33] slc
	v_add_co_u32 v32, vcc_lo, 0xfffffcc0, v17
	v_add_co_ci_u32_e64 v33, null, -1, v18, vcc_lo
	flat_load_ubyte v86, v[32:33] slc
	v_add_co_u32 v32, vcc_lo, 0xfffffce0, v17
	v_add_co_ci_u32_e64 v33, null, -1, v18, vcc_lo
	flat_load_ubyte v87, v[32:33] slc
	v_add_co_u32 v32, vcc_lo, 0xfffffd00, v17
	v_add_co_ci_u32_e64 v33, null, -1, v18, vcc_lo
	flat_load_ubyte v96, v[32:33] slc
	v_add_co_u32 v32, vcc_lo, 0xfffffd20, v17
	v_add_co_ci_u32_e64 v33, null, -1, v18, vcc_lo
	flat_load_ubyte v97, v[32:33] slc
	v_add_co_u32 v32, vcc_lo, 0xfffffd40, v17
	v_add_co_ci_u32_e64 v33, null, -1, v18, vcc_lo
	flat_load_ubyte v32, v[32:33] slc
	v_add_co_u32 v33, vcc_lo, 0xfffffd60, v17
	v_add_co_ci_u32_e64 v34, null, -1, v18, vcc_lo
	flat_load_ubyte v33, v[33:34] slc
	v_add_co_u32 v34, vcc_lo, 0xfffffd80, v17
	v_add_co_ci_u32_e64 v35, null, -1, v18, vcc_lo
	flat_load_ubyte v98, v[34:35] slc
	v_add_co_u32 v34, vcc_lo, 0xfffffda0, v17
	v_add_co_ci_u32_e64 v35, null, -1, v18, vcc_lo
	flat_load_ubyte v99, v[34:35] slc
	v_add_co_u32 v34, vcc_lo, 0xfffffdc0, v17
	v_add_co_ci_u32_e64 v35, null, -1, v18, vcc_lo
	flat_load_ubyte v100, v[34:35] slc
	v_add_co_u32 v34, vcc_lo, 0xfffffde0, v17
	v_add_co_ci_u32_e64 v35, null, -1, v18, vcc_lo
	flat_load_ubyte v30, v[34:35] slc
	v_add_co_u32 v34, vcc_lo, 0xfffffe00, v17
	v_add_co_ci_u32_e64 v35, null, -1, v18, vcc_lo
	flat_load_ubyte v1, v[34:35] slc
	v_add_co_u32 v34, vcc_lo, 0xfffffe20, v17
	v_add_co_ci_u32_e64 v35, null, -1, v18, vcc_lo
	flat_load_ubyte v4, v[34:35] slc
	v_add_co_u32 v34, vcc_lo, 0xfffffe40, v17
	v_add_co_ci_u32_e64 v35, null, -1, v18, vcc_lo
	flat_load_ubyte v5, v[34:35] slc
	v_add_co_u32 v34, vcc_lo, 0xfffffe60, v17
	v_add_co_ci_u32_e64 v35, null, -1, v18, vcc_lo
	flat_load_ubyte v28, v[34:35] slc
	v_add_co_u32 v34, vcc_lo, 0xfffffe80, v17
	v_add_co_ci_u32_e64 v35, null, -1, v18, vcc_lo
	flat_load_ubyte v29, v[34:35] slc
	v_add_co_u32 v34, vcc_lo, 0xfffffea0, v17
	v_add_co_ci_u32_e64 v35, null, -1, v18, vcc_lo
	flat_load_ubyte v31, v[34:35] slc
	v_add_co_u32 v34, vcc_lo, 0xfffffec0, v17
	v_add_co_ci_u32_e64 v35, null, -1, v18, vcc_lo
	flat_load_ubyte v54, v[34:35] slc
	v_add_co_u32 v34, vcc_lo, 0xfffffee0, v17
	v_add_co_ci_u32_e64 v35, null, -1, v18, vcc_lo
	flat_load_ubyte v55, v[34:35] slc
	v_add_co_u32 v34, vcc_lo, 0xffffff00, v17
	v_add_co_ci_u32_e64 v35, null, -1, v18, vcc_lo
	flat_load_ubyte v64, v[34:35] slc
	v_add_co_u32 v34, vcc_lo, 0xffffff20, v17
	v_add_co_ci_u32_e64 v35, null, -1, v18, vcc_lo
	flat_load_ubyte v65, v[34:35] slc
	v_add_co_u32 v34, vcc_lo, 0xffffff40, v17
	v_add_co_ci_u32_e64 v35, null, -1, v18, vcc_lo
	flat_load_ubyte v70, v[34:35] slc
	v_add_co_u32 v34, vcc_lo, 0xffffff60, v17
	v_add_co_ci_u32_e64 v35, null, -1, v18, vcc_lo
	flat_load_ubyte v71, v[34:35] slc
	v_add_co_u32 v34, vcc_lo, 0xffffff80, v17
	v_add_co_ci_u32_e64 v35, null, -1, v18, vcc_lo
	flat_load_ubyte v101, v[34:35] slc
	v_add_co_u32 v34, vcc_lo, 0xffffffa0, v17
	v_add_co_ci_u32_e64 v35, null, -1, v18, vcc_lo
	flat_load_ubyte v102, v[34:35] slc
	v_add_co_u32 v34, vcc_lo, 0xffffffc0, v17
	v_add_co_ci_u32_e64 v35, null, -1, v18, vcc_lo
	flat_load_ubyte v103, v[34:35] slc
	v_add_co_u32 v34, vcc_lo, 0xffffffe0, v17
	v_add_co_ci_u32_e64 v35, null, -1, v18, vcc_lo
	flat_load_ubyte v34, v[34:35] slc
	flat_load_ubyte v35, v[17:18] slc
	s_waitcnt vmcnt(31) lgkmcnt(31)
	flat_store_byte v[8:9], v81 glc slc
	s_waitcnt vmcnt(30) lgkmcnt(31)
	flat_store_byte v[8:9], v82 offset:32 glc slc
	s_waitcnt vmcnt(29) lgkmcnt(31)
	flat_store_byte v[8:9], v83 offset:64 glc slc
	;; [unrolled: 2-line block ×31, first 2 shown]
	flat_store_byte v[10:11], v81 glc slc
	flat_store_byte v[10:11], v82 offset:32 glc slc
	flat_store_byte v[10:11], v83 offset:64 glc slc
	;; [unrolled: 1-line block ×31, first 2 shown]
	v_add_co_u32 v8, vcc_lo, v8, v44
	v_add_co_ci_u32_e64 v9, null, 0, v9, vcc_lo
	v_add_co_u32 v10, vcc_lo, v10, v44
	v_add_co_ci_u32_e64 v11, null, 0, v11, vcc_lo
	v_add_co_u32 v17, vcc_lo, v17, v44
	v_add_co_ci_u32_e64 v18, null, 0, v18, vcc_lo
	v_cmp_gt_i32_e32 vcc_lo, 1, v27
	s_or_b32 s17, vcc_lo, s17
	s_andn2_b32 exec_lo, exec_lo, s17
	s_cbranch_execnz .LBB6_841
; %bb.842:                              ;   in Loop: Header=BB6_746 Depth=3
	s_or_b32 exec_lo, exec_lo, s17
.LBB6_843:                              ;   in Loop: Header=BB6_746 Depth=3
	s_or_b32 exec_lo, exec_lo, s16
	v_lshlrev_b32_e32 v8, 10, v80
	v_cmp_ne_u32_e32 vcc_lo, v20, v8
	s_and_b32 exec_lo, exec_lo, vcc_lo
	s_cbranch_execz .LBB6_849
; %bb.844:                              ;   in Loop: Header=BB6_746 Depth=3
	v_lshlrev_b32_e32 v1, 5, v26
	v_lshlrev_b32_e32 v4, 5, v27
	v_sub_nc_u32_e32 v1, v25, v1
	v_sub_nc_u32_e32 v1, v1, v4
	v_add_nc_u32_e32 v8, v8, v1
	v_sub_nc_u32_e32 v10, v20, v8
	v_cmp_lt_i32_e32 vcc_lo, 0, v10
	s_and_b32 exec_lo, exec_lo, vcc_lo
	s_cbranch_execz .LBB6_849
; %bb.845:                              ;   in Loop: Header=BB6_746 Depth=3
	s_trap 2
	ds_read_b64 v[17:18], v0
	ds_read_b128 v[32:35], v0
	v_add_nc_u32_e32 v1, v8, v19
	s_mov_b32 s21, 0
	v_ashrrev_i32_e32 v4, 31, v1
	s_waitcnt lgkmcnt(1)
	v_add_co_u32 v8, vcc_lo, v17, v1
	v_add_co_ci_u32_e64 v9, null, v18, v4, vcc_lo
	s_waitcnt lgkmcnt(0)
	v_add_co_u32 v11, vcc_lo, v32, v1
	v_add_co_ci_u32_e64 v17, null, v33, v4, vcc_lo
	v_add_co_u32 v18, vcc_lo, v34, v1
	v_add_co_ci_u32_e64 v19, null, v35, v4, vcc_lo
	s_inst_prefetch 0x1
	.p2align	6
.LBB6_846:                              ;   Parent Loop BB6_47 Depth=1
                                        ;     Parent Loop BB6_743 Depth=2
                                        ;       Parent Loop BB6_746 Depth=3
                                        ; =>      This Loop Header: Depth=4
                                        ;           Child Loop BB6_847 Depth 5
	flat_load_ubyte v20, v[8:9] slc
	s_mov_b64 s[18:19], 0
	s_mov_b32 s27, -1
	.p2align	6
.LBB6_847:                              ;   Parent Loop BB6_47 Depth=1
                                        ;     Parent Loop BB6_743 Depth=2
                                        ;       Parent Loop BB6_746 Depth=3
                                        ;         Parent Loop BB6_846 Depth=4
                                        ; =>        This Inner Loop Header: Depth=5
	s_cmp_eq_u32 s18, 1
	s_cselect_b32 vcc_lo, -1, 0
	s_cmp_eq_u32 s18, 0
	v_cndmask_b32_e32 v25, v11, v18, vcc_lo
	v_cndmask_b32_e32 v26, v17, v19, vcc_lo
	s_mov_b64 s[18:19], 1
	v_add_co_u32 v1, s16, v25, 32
	v_add_co_ci_u32_e64 v4, null, 0, v26, s16
	s_cselect_b32 s16, -1, 0
	v_cndmask_b32_e32 v18, v18, v1, vcc_lo
	v_cndmask_b32_e64 v11, v11, v1, s16
	v_cndmask_b32_e32 v19, v19, v4, vcc_lo
	v_cndmask_b32_e64 v17, v17, v4, s16
	s_and_b32 s17, exec_lo, s27
	s_mov_b32 s27, 0
	s_mov_b32 vcc_lo, s17
	s_waitcnt vmcnt(0) lgkmcnt(0)
	flat_store_byte v[25:26], v20 glc slc
	s_cbranch_vccnz .LBB6_847
; %bb.848:                              ;   in Loop: Header=BB6_846 Depth=4
	v_sub_nc_u32_e32 v10, v10, v118
	v_add_co_u32 v11, vcc_lo, v11, v46
	v_add_co_ci_u32_e64 v17, null, v17, v57, vcc_lo
	v_add_co_u32 v18, vcc_lo, v18, v46
	v_add_co_ci_u32_e64 v19, null, v19, v57, vcc_lo
	v_cmp_gt_i32_e32 vcc_lo, 1, v10
	v_add_co_u32 v8, s16, v60, v8
	v_add_co_ci_u32_e64 v9, null, v61, v9, s16
	s_or_b32 s21, vcc_lo, s21
	s_andn2_b32 exec_lo, exec_lo, s21
	s_cbranch_execnz .LBB6_846
.LBB6_849:                              ;   in Loop: Header=BB6_746 Depth=3
	s_inst_prefetch 0x2
	s_or_b32 exec_lo, exec_lo, s20
	s_mov_b32 s16, 0
.LBB6_850:                              ;   in Loop: Header=BB6_746 Depth=3
	s_and_b32 vcc_lo, exec_lo, s16
	s_cbranch_vccz .LBB6_877
; %bb.851:                              ;   in Loop: Header=BB6_746 Depth=3
	s_mov_b32 s16, -1
	s_and_saveexec_b32 s17, s13
	s_cbranch_execz .LBB6_853
; %bb.852:                              ;   in Loop: Header=BB6_746 Depth=3
	ds_read_b32 v1, v0 offset:720
	s_waitcnt lgkmcnt(0)
	v_and_b32_e32 v1, 15, v1
	v_cmp_eq_u32_e32 vcc_lo, 0, v1
	s_orn2_b32 s16, vcc_lo, exec_lo
.LBB6_853:                              ;   in Loop: Header=BB6_746 Depth=3
	s_or_b32 exec_lo, exec_lo, s17
	s_and_saveexec_b32 s17, s12
	s_cbranch_execz .LBB6_855
; %bb.854:                              ;   in Loop: Header=BB6_746 Depth=3
	ds_read_b32 v1, v0 offset:784
	s_waitcnt lgkmcnt(0)
	v_and_b32_e32 v1, 15, v1
	v_cmp_eq_u32_e32 vcc_lo, 0, v1
	s_and_b32 s18, s16, vcc_lo
	s_andn2_b32 s16, s16, exec_lo
	s_and_b32 s18, s18, exec_lo
	s_or_b32 s16, s16, s18
.LBB6_855:                              ;   in Loop: Header=BB6_746 Depth=3
	s_or_b32 exec_lo, exec_lo, s17
	s_xor_b32 s16, s16, -1
	v_mov_b32_e32 v10, 0
	v_cndmask_b32_e64 v1, 0, 1, s16
	v_mov_b32_e32 v8, v24
	v_mov_b32_e32 v9, v0
	s_mov_b32 s16, -1
	v_cmp_ne_u32_e32 vcc_lo, 0, v1
	s_cbranch_vccz .LBB6_857
; %bb.856:                              ;   in Loop: Header=BB6_746 Depth=3
	s_and_saveexec_b32 s17, s16
	s_cbranch_execnz .LBB6_868
	s_branch .LBB6_876
.LBB6_857:                              ;   in Loop: Header=BB6_746 Depth=3
	v_ashrrev_i32_e32 v1, 31, v24
	s_mov_b32 s17, exec_lo
	v_lshrrev_b32_e32 v1, 20, v1
	v_add_nc_u32_e32 v1, v24, v1
	v_ashrrev_i32_e32 v18, 12, v1
	v_sub_nc_u32_e32 v17, v18, v117
	v_cmpx_lt_i32_e32 0, v17
	s_cbranch_execz .LBB6_861
; %bb.858:                              ;   in Loop: Header=BB6_746 Depth=3
	v_mov_b32_e32 v8, v15
	v_mov_b32_e32 v10, v13
	;; [unrolled: 1-line block ×4, first 2 shown]
	s_mov_b32 s18, 0
.LBB6_859:                              ;   Parent Loop BB6_47 Depth=1
                                        ;     Parent Loop BB6_743 Depth=2
                                        ;       Parent Loop BB6_746 Depth=3
                                        ; =>      This Inner Loop Header: Depth=4
	v_add_co_u32 v19, vcc_lo, v58, v10
	v_add_co_ci_u32_e64 v20, null, 0, v11, vcc_lo
	v_sub_nc_u32_e32 v17, v17, v115
	v_add_co_u32 v25, vcc_lo, 0x800, v19
	v_add_co_ci_u32_e64 v26, null, 0, v20, vcc_lo
	s_clause 0x3
	global_load_dwordx4 v[32:35], v[19:20], off slc
	global_load_dwordx4 v[80:83], v[19:20], off offset:512 slc
	global_load_dwordx4 v[84:87], v[19:20], off offset:1024 slc
	;; [unrolled: 1-line block ×3, first 2 shown]
	s_clause 0x3
	global_load_dwordx4 v[100:103], v[25:26], off slc
	global_load_dwordx4 v[74:77], v[25:26], off offset:512 slc
	global_load_dwordx4 v[88:91], v[25:26], off offset:1024 slc
	;; [unrolled: 1-line block ×3, first 2 shown]
	v_add_co_u32 v19, vcc_lo, v58, v8
	v_add_co_ci_u32_e64 v20, null, 0, v9, vcc_lo
	v_add_co_u32 v10, vcc_lo, v10, v42
	v_add_co_ci_u32_e64 v11, null, 0, v11, vcc_lo
	;; [unrolled: 2-line block ×3, first 2 shown]
	v_cmp_gt_i32_e32 vcc_lo, 1, v17
	v_add_co_u32 v25, s16, 0x800, v19
	v_add_co_ci_u32_e64 v26, null, 0, v20, s16
	s_or_b32 s18, vcc_lo, s18
	s_waitcnt vmcnt(7)
	global_store_dwordx4 v[19:20], v[32:35], off glc slc
	s_waitcnt vmcnt(6)
	global_store_dwordx4 v[19:20], v[80:83], off offset:512 glc slc
	s_waitcnt vmcnt(5)
	global_store_dwordx4 v[19:20], v[84:87], off offset:1024 glc slc
	;; [unrolled: 2-line block ×3, first 2 shown]
	s_waitcnt vmcnt(3)
	global_store_dwordx4 v[25:26], v[100:103], off glc slc
	s_waitcnt vmcnt(2)
	global_store_dwordx4 v[25:26], v[74:77], off offset:512 glc slc
	s_waitcnt vmcnt(1)
	global_store_dwordx4 v[25:26], v[88:91], off offset:1024 glc slc
	;; [unrolled: 2-line block ×3, first 2 shown]
	s_andn2_b32 exec_lo, exec_lo, s18
	s_cbranch_execnz .LBB6_859
; %bb.860:                              ;   in Loop: Header=BB6_746 Depth=3
	s_or_b32 exec_lo, exec_lo, s18
.LBB6_861:                              ;   in Loop: Header=BB6_746 Depth=3
	s_or_b32 exec_lo, exec_lo, s17
	v_lshlrev_b32_e32 v11, 12, v18
	v_mov_b32_e32 v10, 0
	s_mov_b32 s16, 0
	s_mov_b32 s18, exec_lo
                                        ; implicit-def: $vgpr8
                                        ; implicit-def: $vgpr9
	v_cmpx_ne_u32_e64 v24, v11
	s_cbranch_execz .LBB6_867
; %bb.862:                              ;   in Loop: Header=BB6_746 Depth=3
	v_lshlrev_b32_e32 v1, 5, v17
	v_sub_nc_u32_e32 v5, v24, v11
	s_mov_b32 s19, exec_lo
	v_sub_nc_u32_e32 v1, v47, v1
	v_ashrrev_i32_e32 v8, 31, v5
	v_ashrrev_i32_e32 v4, 31, v1
	v_lshrrev_b32_e32 v8, 23, v8
	v_lshrrev_b32_e32 v4, 27, v4
	v_add_nc_u32_e32 v17, v5, v8
	v_add_nc_u32_e32 v4, v1, v4
	v_and_b32_e32 v10, 0xfffffe00, v17
	v_ashrrev_i32_e32 v17, 9, v17
	v_and_b32_e32 v9, 0xffffffe0, v4
	v_sub_nc_u32_e32 v8, v5, v10
	v_sub_nc_u32_e32 v9, v1, v9
	v_ashrrev_i32_e32 v1, 5, v4
	v_cmp_lt_i32_e32 vcc_lo, 15, v8
	v_lshlrev_b32_e32 v4, 4, v9
	v_lshl_add_u32 v19, v1, 9, v4
	v_add_co_ci_u32_e64 v4, null, 0, v17, vcc_lo
	v_sub_nc_u32_e32 v18, v5, v19
	v_sub_nc_u32_e32 v17, v4, v1
	v_cmpx_lt_i32_e32 15, v18
	s_cbranch_execz .LBB6_866
; %bb.863:                              ;   in Loop: Header=BB6_746 Depth=3
	v_add_nc_u32_e32 v19, v19, v11
	s_mov_b32 s20, 0
	v_ashrrev_i32_e32 v20, 31, v19
	.p2align	6
.LBB6_864:                              ;   Parent Loop BB6_47 Depth=1
                                        ;     Parent Loop BB6_743 Depth=2
                                        ;       Parent Loop BB6_746 Depth=3
                                        ; =>      This Inner Loop Header: Depth=4
	v_add_co_u32 v25, s16, v13, v19
	v_add_co_ci_u32_e64 v26, null, v14, v20, s16
	v_sub_nc_u32_e32 v18, v18, v43
	v_sub_nc_u32_e32 v17, v17, v115
	global_load_dwordx4 v[32:35], v[25:26], off slc
	v_add_co_u32 v25, s16, v15, v19
	v_add_co_ci_u32_e64 v26, null, v16, v20, s16
	v_cmp_gt_i32_e64 s16, 16, v18
	v_add_co_u32 v19, s17, v19, v43
	v_add_co_ci_u32_e64 v20, null, 0, v20, s17
	s_or_b32 s20, s16, s20
	s_waitcnt vmcnt(0)
	global_store_dwordx4 v[25:26], v[32:35], off glc slc
	s_andn2_b32 exec_lo, exec_lo, s20
	s_cbranch_execnz .LBB6_864
; %bb.865:                              ;   in Loop: Header=BB6_746 Depth=3
	s_or_b32 exec_lo, exec_lo, s20
.LBB6_866:                              ;   in Loop: Header=BB6_746 Depth=3
	s_or_b32 exec_lo, exec_lo, s19
	v_and_b32_e32 v1, 15, v24
	v_cmp_lt_i32_e64 s16, 0, v17
	v_sub_nc_u32_e32 v4, v8, v1
	v_cndmask_b32_e64 v5, 0, v115, s16
	v_cndmask_b32_e32 v8, v8, v1, vcc_lo
	v_cndmask_b32_e32 v1, 0, v4, vcc_lo
	v_sub_nc_u32_e32 v4, v5, v17
	v_cmp_ne_u32_e32 vcc_lo, 0, v8
	v_add3_u32 v10, v10, v11, v1
	v_lshl_add_u32 v9, v4, 5, v9
	s_and_b32 s16, vcc_lo, exec_lo
.LBB6_867:                              ;   in Loop: Header=BB6_746 Depth=3
	s_or_b32 exec_lo, exec_lo, s18
	s_and_saveexec_b32 s17, s16
	s_cbranch_execz .LBB6_876
.LBB6_868:                              ;   in Loop: Header=BB6_746 Depth=3
	v_ashrrev_i32_e32 v1, 31, v9
	v_ashrrev_i32_e32 v4, 31, v8
	s_mov_b32 s16, exec_lo
	v_lshrrev_b32_e32 v1, 27, v1
	v_lshrrev_b32_e32 v4, 22, v4
	v_add_nc_u32_e32 v19, v9, v1
	v_add_nc_u32_e32 v1, v8, v4
	v_ashrrev_i32_e32 v11, 5, v19
	v_ashrrev_i32_e32 v18, 10, v1
	v_sub_nc_u32_e32 v17, v18, v11
	v_cmpx_lt_i32_e32 0, v17
	s_cbranch_execz .LBB6_872
; %bb.869:                              ;   in Loop: Header=BB6_746 Depth=3
	v_and_b32_e32 v1, 0xffffffe0, v19
	v_lshlrev_b32_e32 v4, 10, v11
	s_mov_b32 s18, 0
	v_sub_nc_u32_e32 v1, v9, v1
	v_add3_u32 v19, v10, v1, v4
	v_ashrrev_i32_e32 v20, 31, v19
.LBB6_870:                              ;   Parent Loop BB6_47 Depth=1
                                        ;     Parent Loop BB6_743 Depth=2
                                        ;       Parent Loop BB6_746 Depth=3
                                        ; =>      This Inner Loop Header: Depth=4
	v_add_co_u32 v25, vcc_lo, v19, v13
	v_add_co_ci_u32_e64 v26, null, v20, v14, vcc_lo
	v_sub_nc_u32_e32 v17, v17, v115
	s_clause 0x1f
	flat_load_ubyte v1, v[25:26] slc
	flat_load_ubyte v4, v[25:26] offset:32 slc
	flat_load_ubyte v5, v[25:26] offset:64 slc
	;; [unrolled: 1-line block ×31, first 2 shown]
	v_add_co_u32 v25, vcc_lo, v19, v15
	v_add_co_ci_u32_e64 v26, null, v20, v16, vcc_lo
	v_add_co_u32 v13, vcc_lo, v13, v44
	v_add_co_ci_u32_e64 v14, null, 0, v14, vcc_lo
	;; [unrolled: 2-line block ×3, first 2 shown]
	v_cmp_gt_i32_e32 vcc_lo, 1, v17
	s_waitcnt vmcnt(31) lgkmcnt(31)
	flat_store_byte v[25:26], v1 glc slc
	s_waitcnt vmcnt(30) lgkmcnt(31)
	flat_store_byte v[25:26], v4 offset:32 glc slc
	s_waitcnt vmcnt(29) lgkmcnt(31)
	flat_store_byte v[25:26], v5 offset:64 glc slc
	;; [unrolled: 2-line block ×31, first 2 shown]
	s_or_b32 s18, vcc_lo, s18
	s_andn2_b32 exec_lo, exec_lo, s18
	s_cbranch_execnz .LBB6_870
; %bb.871:                              ;   in Loop: Header=BB6_746 Depth=3
	s_or_b32 exec_lo, exec_lo, s18
.LBB6_872:                              ;   in Loop: Header=BB6_746 Depth=3
	s_or_b32 exec_lo, exec_lo, s16
	v_lshlrev_b32_e32 v13, 10, v18
	v_cmp_ne_u32_e32 vcc_lo, v8, v13
	s_and_b32 exec_lo, exec_lo, vcc_lo
	s_cbranch_execz .LBB6_876
; %bb.873:                              ;   in Loop: Header=BB6_746 Depth=3
	v_lshlrev_b32_e32 v1, 5, v11
	v_lshlrev_b32_e32 v4, 5, v17
	v_sub_nc_u32_e32 v1, v9, v1
	v_sub_nc_u32_e32 v1, v1, v4
	v_add_nc_u32_e32 v13, v13, v1
	v_sub_nc_u32_e32 v11, v8, v13
	v_cmp_lt_i32_e32 vcc_lo, 0, v11
	s_and_b32 exec_lo, exec_lo, vcc_lo
	s_cbranch_execz .LBB6_876
; %bb.874:                              ;   in Loop: Header=BB6_746 Depth=3
	s_trap 2
	ds_read_b64 v[8:9], v0
	v_add_nc_u32_e32 v10, v13, v10
	s_mov_b32 s18, 0
	v_ashrrev_i32_e32 v13, 31, v10
	.p2align	6
.LBB6_875:                              ;   Parent Loop BB6_47 Depth=1
                                        ;     Parent Loop BB6_743 Depth=2
                                        ;       Parent Loop BB6_746 Depth=3
                                        ; =>      This Inner Loop Header: Depth=4
	s_waitcnt lgkmcnt(0)
	v_add_co_u32 v14, vcc_lo, v8, v10
	v_add_co_ci_u32_e64 v15, null, v9, v13, vcc_lo
	v_sub_nc_u32_e32 v11, v11, v118
	v_add_co_u32 v10, s16, v10, v118
	flat_load_ubyte v1, v[14:15] slc
	v_add_co_ci_u32_e64 v13, null, 0, v13, s16
	v_cmp_gt_i32_e32 vcc_lo, 1, v11
	s_or_b32 s18, vcc_lo, s18
	s_waitcnt vmcnt(0) lgkmcnt(0)
	flat_store_byte v[14:15], v1 glc slc
	s_andn2_b32 exec_lo, exec_lo, s18
	s_cbranch_execnz .LBB6_875
.LBB6_876:                              ;   in Loop: Header=BB6_746 Depth=3
	s_or_b32 exec_lo, exec_lo, s17
.LBB6_877:                              ;   in Loop: Header=BB6_746 Depth=3
	v_cmp_lt_i32_e64 s16, 0, v24
	s_and_saveexec_b32 s17, s6
	s_cbranch_execz .LBB6_822
.LBB6_878:                              ;   in Loop: Header=BB6_746 Depth=3
	s_and_saveexec_b32 s18, s46
	s_xor_b32 s18, exec_lo, s18
	s_cbranch_execz .LBB6_893
; %bb.879:                              ;   in Loop: Header=BB6_746 Depth=3
	s_and_saveexec_b32 s19, s11
	s_cbranch_execz .LBB6_892
; %bb.880:                              ;   in Loop: Header=BB6_746 Depth=3
	s_mov_b32 s21, exec_lo
	s_mov_b32 s20, exec_lo
	v_mbcnt_lo_u32_b32 v1, s21, 0
	s_waitcnt vmcnt(0) lgkmcnt(0)
	s_waitcnt_vscnt null, 0x0
	buffer_gl1_inv
	buffer_gl0_inv
	v_cmpx_eq_u32_e32 0, v1
	s_cbranch_execz .LBB6_882
; %bb.881:                              ;   in Loop: Header=BB6_746 Depth=3
	s_bcnt1_i32_b32 s21, s21
	v_mov_b32_e32 v9, v2
	v_mov_b32_e32 v8, s21
	ds_add_u64 v0, v[8:9]
	s_trap 2
.LBB6_882:                              ;   in Loop: Header=BB6_746 Depth=3
	s_or_b32 exec_lo, exec_lo, s20
	s_trap 2
	ds_read_b64 v[8:9], v0
	s_waitcnt lgkmcnt(0)
	buffer_gl0_inv
	v_add_co_u32 v50, vcc_lo, v50, v115
	v_add_co_ci_u32_e64 v51, null, 0, v51, vcc_lo
	s_mov_b32 s20, exec_lo
	v_cmpx_lt_u64_e64 v[8:9], v[50:51]
	s_cbranch_execz .LBB6_891
; %bb.883:                              ;   in Loop: Header=BB6_746 Depth=3
	s_mov_b32 s21, 0
	s_mov_b32 s41, 0
                                        ; implicit-def: $sgpr27
                                        ; implicit-def: $sgpr28
	s_inst_prefetch 0x1
	s_branch .LBB6_885
	.p2align	6
.LBB6_884:                              ;   in Loop: Header=BB6_885 Depth=4
	s_or_b32 exec_lo, exec_lo, s77
	s_and_b32 s76, exec_lo, s78
	s_or_b32 s21, s76, s21
	s_andn2_b32 s27, s27, exec_lo
	s_and_b32 s76, s28, exec_lo
	s_or_b32 s27, s27, s76
	s_andn2_b32 exec_lo, exec_lo, s21
	s_cbranch_execz .LBB6_889
.LBB6_885:                              ;   Parent Loop BB6_47 Depth=1
                                        ;     Parent Loop BB6_743 Depth=2
                                        ;       Parent Loop BB6_746 Depth=3
                                        ; =>      This Inner Loop Header: Depth=4
	s_add_i32 s41, s41, 1
	s_cmpk_lg_i32 s41, 0x2710
	s_cselect_b32 s76, -1, 0
	s_and_b32 vcc_lo, exec_lo, s76
	s_cbranch_vccz .LBB6_887
; %bb.886:                              ;   in Loop: Header=BB6_885 Depth=4
	s_mov_b32 s78, -1
	s_or_b32 s28, s28, exec_lo
	s_and_saveexec_b32 s77, s76
	s_cbranch_execz .LBB6_884
	s_branch .LBB6_888
	.p2align	6
.LBB6_887:                              ;   in Loop: Header=BB6_885 Depth=4
	s_trap 2
	ds_read_b64 v[8:9], v0
	s_andn2_b32 s76, s76, exec_lo
	s_mov_b32 s41, 0
	s_waitcnt lgkmcnt(0)
	flat_load_dword v1, v[8:9] glc dlc
	s_waitcnt vmcnt(0) lgkmcnt(0)
	buffer_gl1_inv
	buffer_gl0_inv
	v_cmp_eq_u32_e32 vcc_lo, 0, v1
	s_and_b32 s77, vcc_lo, exec_lo
	s_or_b32 s76, s76, s77
	s_mov_b32 s78, -1
	s_or_b32 s28, s28, exec_lo
	s_and_saveexec_b32 s77, s76
	s_cbranch_execz .LBB6_884
.LBB6_888:                              ;   in Loop: Header=BB6_885 Depth=4
	s_sleep 1
	s_trap 2
	ds_read_b64 v[8:9], v0
	s_waitcnt lgkmcnt(0)
	buffer_gl0_inv
	s_andn2_b32 s28, s28, exec_lo
	v_cmp_ge_u64_e32 vcc_lo, v[8:9], v[50:51]
	s_orn2_b32 s78, vcc_lo, exec_lo
	s_branch .LBB6_884
.LBB6_889:                              ;   in Loop: Header=BB6_746 Depth=3
	s_inst_prefetch 0x2
	s_or_b32 exec_lo, exec_lo, s21
	s_and_saveexec_b32 s21, s27
	s_xor_b32 s21, exec_lo, s21
	s_cbranch_execz .LBB6_891
; %bb.890:                              ;   in Loop: Header=BB6_746 Depth=3
	ds_write_b32 v0, v119
	s_trap 2
.LBB6_891:                              ;   in Loop: Header=BB6_746 Depth=3
	s_or_b32 exec_lo, exec_lo, s20
	;;#ASMSTART
	s_wakeup
	;;#ASMEND
.LBB6_892:                              ;   in Loop: Header=BB6_746 Depth=3
	s_or_b32 exec_lo, exec_lo, s19
.LBB6_893:                              ;   in Loop: Header=BB6_746 Depth=3
	s_andn2_saveexec_b32 s18, s18
	s_cbranch_execz .LBB6_895
; %bb.894:                              ;   in Loop: Header=BB6_746 Depth=3
	s_waitcnt vmcnt(0) lgkmcnt(0)
	s_waitcnt_vscnt null, 0x0
	buffer_gl1_inv
	buffer_gl0_inv
	s_barrier
.LBB6_895:                              ;   in Loop: Header=BB6_746 Depth=3
	s_or_b32 exec_lo, exec_lo, s18
	s_or_b32 exec_lo, exec_lo, s17
                                        ; implicit-def: $vgpr8
	s_and_saveexec_b32 s17, s15
	s_xor_b32 s17, exec_lo, s17
	s_cbranch_execnz .LBB6_823
.LBB6_896:                              ;   in Loop: Header=BB6_746 Depth=3
	s_andn2_saveexec_b32 s16, s17
	s_cbranch_execz .LBB6_915
.LBB6_897:                              ;   in Loop: Header=BB6_746 Depth=3
	s_and_saveexec_b32 s17, s46
	s_xor_b32 s17, exec_lo, s17
	s_cbranch_execz .LBB6_912
; %bb.898:                              ;   in Loop: Header=BB6_746 Depth=3
	s_and_saveexec_b32 s18, s11
	s_cbranch_execz .LBB6_911
; %bb.899:                              ;   in Loop: Header=BB6_746 Depth=3
	s_mov_b32 s20, exec_lo
	s_mov_b32 s19, exec_lo
	v_mbcnt_lo_u32_b32 v1, s20, 0
	;;#ASMSTART
	s_waitcnt lgkmcnt(0) vmcnt(0)
	;;#ASMEND
	v_cmpx_eq_u32_e32 0, v1
	s_cbranch_execz .LBB6_901
; %bb.900:                              ;   in Loop: Header=BB6_746 Depth=3
	s_bcnt1_i32_b32 s20, s20
	v_mov_b32_e32 v9, v2
	v_mov_b32_e32 v8, s20
	s_waitcnt vmcnt(0) lgkmcnt(0)
	s_waitcnt_vscnt null, 0x0
	ds_add_u64 v0, v[8:9]
	s_trap 2
.LBB6_901:                              ;   in Loop: Header=BB6_746 Depth=3
	s_or_b32 exec_lo, exec_lo, s19
	s_trap 2
	ds_read_b64 v[8:9], v0
	s_waitcnt vmcnt(0) lgkmcnt(0)
	buffer_gl0_inv
	v_add_co_u32 v50, vcc_lo, v50, v115
	v_add_co_ci_u32_e64 v51, null, 0, v51, vcc_lo
	s_mov_b32 s19, exec_lo
	v_cmpx_lt_u64_e64 v[8:9], v[50:51]
	s_cbranch_execz .LBB6_910
; %bb.902:                              ;   in Loop: Header=BB6_746 Depth=3
	s_mov_b32 s20, 0
	s_mov_b32 s28, 0
                                        ; implicit-def: $sgpr21
                                        ; implicit-def: $sgpr27
	s_inst_prefetch 0x1
	s_branch .LBB6_904
	.p2align	6
.LBB6_903:                              ;   in Loop: Header=BB6_904 Depth=4
	s_or_b32 exec_lo, exec_lo, s76
	s_and_b32 s41, exec_lo, s77
	s_or_b32 s20, s41, s20
	s_andn2_b32 s21, s21, exec_lo
	s_and_b32 s41, s27, exec_lo
	s_or_b32 s21, s21, s41
	s_andn2_b32 exec_lo, exec_lo, s20
	s_cbranch_execz .LBB6_908
.LBB6_904:                              ;   Parent Loop BB6_47 Depth=1
                                        ;     Parent Loop BB6_743 Depth=2
                                        ;       Parent Loop BB6_746 Depth=3
                                        ; =>      This Inner Loop Header: Depth=4
	s_add_i32 s28, s28, 1
	s_cmpk_lg_i32 s28, 0x2710
	s_cselect_b32 s41, -1, 0
	s_and_b32 vcc_lo, exec_lo, s41
	s_cbranch_vccz .LBB6_906
; %bb.905:                              ;   in Loop: Header=BB6_904 Depth=4
	s_mov_b32 s77, -1
	s_or_b32 s27, s27, exec_lo
	s_and_saveexec_b32 s76, s41
	s_cbranch_execz .LBB6_903
	s_branch .LBB6_907
	.p2align	6
.LBB6_906:                              ;   in Loop: Header=BB6_904 Depth=4
	s_trap 2
	ds_read_b64 v[8:9], v0
	s_andn2_b32 s41, s41, exec_lo
	s_mov_b32 s28, 0
	s_waitcnt lgkmcnt(0)
	s_waitcnt_vscnt null, 0x0
	flat_load_dword v1, v[8:9] glc dlc
	s_waitcnt vmcnt(0) lgkmcnt(0)
	buffer_gl1_inv
	buffer_gl0_inv
	v_cmp_eq_u32_e32 vcc_lo, 0, v1
	s_and_b32 s76, vcc_lo, exec_lo
	s_or_b32 s41, s41, s76
	s_mov_b32 s77, -1
	s_or_b32 s27, s27, exec_lo
	s_and_saveexec_b32 s76, s41
	s_cbranch_execz .LBB6_903
.LBB6_907:                              ;   in Loop: Header=BB6_904 Depth=4
	s_sleep 1
	s_trap 2
	ds_read_b64 v[8:9], v0
	s_waitcnt lgkmcnt(0)
	buffer_gl0_inv
	s_andn2_b32 s27, s27, exec_lo
	v_cmp_ge_u64_e32 vcc_lo, v[8:9], v[50:51]
	s_orn2_b32 s77, vcc_lo, exec_lo
	s_branch .LBB6_903
.LBB6_908:                              ;   in Loop: Header=BB6_746 Depth=3
	s_inst_prefetch 0x2
	s_or_b32 exec_lo, exec_lo, s20
	s_and_saveexec_b32 s20, s21
	s_xor_b32 s20, exec_lo, s20
	s_cbranch_execz .LBB6_910
; %bb.909:                              ;   in Loop: Header=BB6_746 Depth=3
	ds_write_b32 v0, v119
	s_trap 2
.LBB6_910:                              ;   in Loop: Header=BB6_746 Depth=3
	s_or_b32 exec_lo, exec_lo, s19
	;;#ASMSTART
	s_wakeup
	;;#ASMEND
.LBB6_911:                              ;   in Loop: Header=BB6_746 Depth=3
	s_or_b32 exec_lo, exec_lo, s18
.LBB6_912:                              ;   in Loop: Header=BB6_746 Depth=3
	s_andn2_saveexec_b32 s17, s17
	s_cbranch_execz .LBB6_914
; %bb.913:                              ;   in Loop: Header=BB6_746 Depth=3
	;;#ASMSTART
	s_waitcnt lgkmcnt(0) vmcnt(0)
	;;#ASMEND
	s_barrier
.LBB6_914:                              ;   in Loop: Header=BB6_746 Depth=3
	s_or_b32 exec_lo, exec_lo, s17
	v_and_b32_e32 v8, 16, v112
.LBB6_915:                              ;   in Loop: Header=BB6_746 Depth=3
	s_or_b32 exec_lo, exec_lo, s16
	v_cmp_ne_u32_e32 vcc_lo, 0, v8
	s_xor_b32 s16, s7, -1
	s_and_b32 s17, vcc_lo, s16
	s_and_saveexec_b32 s16, s17
	s_cbranch_execz .LBB6_917
; %bb.916:                              ;   in Loop: Header=BB6_746 Depth=3
	s_waitcnt vmcnt(0) lgkmcnt(0)
	s_waitcnt_vscnt null, 0x0
	flat_store_dword v[48:49], v119
.LBB6_917:                              ;   in Loop: Header=BB6_746 Depth=3
	s_or_b32 exec_lo, exec_lo, s16
	v_and_b32_e32 v1, 48, v112
	s_mov_b32 s16, exec_lo
	v_cmpx_ne_u32_e32 0, v1
	s_cbranch_execz .LBB6_745
; %bb.918:                              ;   in Loop: Header=BB6_746 Depth=3
	v_add_co_u32 v68, vcc_lo, v68, 2
	v_add_co_ci_u32_e64 v69, null, 0, v69, vcc_lo
	s_waitcnt vmcnt(0) lgkmcnt(0)
	s_waitcnt_vscnt null, 0x0
	flat_store_dwordx2 v[36:37], v[68:69]
	s_branch .LBB6_745
.LBB6_919:                              ;   in Loop: Header=BB6_743 Depth=2
	s_or_b32 exec_lo, exec_lo, s24
.LBB6_920:                              ;   in Loop: Header=BB6_743 Depth=2
	s_or_b32 exec_lo, exec_lo, s23
	s_mov_b32 s17, exec_lo
	v_cmpx_gt_i32_e32 2, v10
	s_cbranch_execz .LBB6_996
; %bb.921:                              ;   in Loop: Header=BB6_743 Depth=2
	v_cmp_eq_u32_e64 s19, 0, v10
	s_mov_b32 s18, 0
	s_branch .LBB6_923
.LBB6_922:                              ;   in Loop: Header=BB6_923 Depth=3
	s_or_b32 exec_lo, exec_lo, s16
	v_add_nc_u32_e32 v21, v12, v21
	s_mov_b32 s19, 0
	s_andn2_b32 exec_lo, exec_lo, s18
	s_cbranch_execz .LBB6_995
.LBB6_923:                              ;   Parent Loop BB6_47 Depth=1
                                        ;     Parent Loop BB6_743 Depth=2
                                        ; =>    This Loop Header: Depth=3
                                        ;         Child Loop BB6_929 Depth 4
                                        ;         Child Loop BB6_957 Depth 4
	;; [unrolled: 1-line block ×3, first 2 shown]
	v_sub_nc_u32_e32 v1, v3, v21
	v_and_b32_e32 v4, 12, v112
	s_mov_b32 s20, exec_lo
	v_min_i32_e32 v12, v12, v1
	v_cmpx_ne_u32_e32 0, v4
	s_cbranch_execz .LBB6_949
; %bb.924:                              ;   in Loop: Header=BB6_923 Depth=3
	v_and_b32_e32 v17, 8, v112
	s_mov_b32 s21, exec_lo
	s_waitcnt vmcnt(0) lgkmcnt(1)
	v_add_co_u32 v10, vcc_lo, v52, v17
	v_add_co_ci_u32_e64 v11, null, 0, v53, vcc_lo
	v_add_co_u32 v8, vcc_lo, v68, 2
	v_add_co_ci_u32_e64 v9, null, 0, v69, vcc_lo
	v_cmpx_lt_u64_e64 v[10:11], v[8:9]
	s_cbranch_execz .LBB6_936
; %bb.925:                              ;   in Loop: Header=BB6_923 Depth=3
	v_and_b32_e32 v1, 64, v112
	s_mov_b32 s23, 0
	s_mov_b32 s27, 0
                                        ; implicit-def: $sgpr24
                                        ; implicit-def: $sgpr25
                                        ; implicit-def: $sgpr26
	v_cmp_eq_u32_e32 vcc_lo, 0, v1
	s_branch .LBB6_929
.LBB6_926:                              ;   in Loop: Header=BB6_929 Depth=4
	s_waitcnt vmcnt(0) lgkmcnt(0)
	v_add_co_u32 v13, s16, v52, v17
	v_add_co_ci_u32_e64 v14, null, 0, v53, s16
	s_or_b32 s76, s76, exec_lo
	v_cmp_ge_u64_e64 s16, v[13:14], v[8:9]
	s_orn2_b32 s41, s16, exec_lo
.LBB6_927:                              ;   in Loop: Header=BB6_929 Depth=4
	s_or_b32 exec_lo, exec_lo, s78
	s_andn2_b32 s16, s26, exec_lo
	s_and_b32 s26, s76, exec_lo
	s_andn2_b32 s25, s25, exec_lo
	s_and_b32 s41, s41, exec_lo
	s_or_b32 s26, s16, s26
	s_or_b32 s25, s25, s41
.LBB6_928:                              ;   in Loop: Header=BB6_929 Depth=4
	s_or_b32 exec_lo, exec_lo, s28
	s_and_b32 s16, exec_lo, s25
	s_or_b32 s23, s16, s23
	s_andn2_b32 s16, s24, exec_lo
	s_and_b32 s24, s26, exec_lo
	s_or_b32 s24, s16, s24
	s_andn2_b32 exec_lo, exec_lo, s23
	s_cbranch_execz .LBB6_933
.LBB6_929:                              ;   Parent Loop BB6_47 Depth=1
                                        ;     Parent Loop BB6_743 Depth=2
                                        ;       Parent Loop BB6_923 Depth=3
                                        ; =>      This Inner Loop Header: Depth=4
	s_sleep 1
	s_waitcnt vmcnt(0) lgkmcnt(0)
	flat_load_dwordx2 v[52:53], v[36:37] glc dlc
	s_or_b32 s26, s26, exec_lo
	s_or_b32 s25, s25, exec_lo
                                        ; implicit-def: $vgpr10
	s_and_saveexec_b32 s28, vcc_lo
	s_cbranch_execz .LBB6_928
; %bb.930:                              ;   in Loop: Header=BB6_929 Depth=4
	s_cmpk_lt_i32 s27, 0x270f
	s_mov_b32 s41, -1
	s_cselect_b32 s77, -1, 0
	s_cmpk_gt_i32 s27, 0x270e
	s_cbranch_scc0 .LBB6_932
; %bb.931:                              ;   in Loop: Header=BB6_929 Depth=4
	s_trap 2
	ds_read_b64 v[10:11], v0
	s_andn2_b32 s27, s77, exec_lo
	s_mov_b32 s76, 0
	s_waitcnt vmcnt(0) lgkmcnt(0)
	s_waitcnt_vscnt null, 0x0
	flat_load_dword v10, v[10:11] glc dlc
	s_waitcnt vmcnt(0) lgkmcnt(0)
	buffer_gl1_inv
	buffer_gl0_inv
	v_cmp_eq_u32_e64 s16, 0, v10
	s_and_b32 s16, s16, exec_lo
	s_or_b32 s77, s27, s16
	s_mov_b32 s27, 0
	s_and_saveexec_b32 s78, s77
	s_cbranch_execz .LBB6_927
	s_branch .LBB6_926
.LBB6_932:                              ;   in Loop: Header=BB6_929 Depth=4
	s_add_i32 s27, s27, 1
	s_mov_b32 s76, -1
                                        ; implicit-def: $vgpr10
	s_and_saveexec_b32 s78, s77
	s_cbranch_execz .LBB6_927
	s_branch .LBB6_926
.LBB6_933:                              ;   in Loop: Header=BB6_923 Depth=3
	s_or_b32 exec_lo, exec_lo, s23
	s_xor_b32 s16, s24, -1
	s_and_saveexec_b32 s23, s16
	s_xor_b32 s16, exec_lo, s23
	s_cbranch_execz .LBB6_935
; %bb.934:                              ;   in Loop: Header=BB6_923 Depth=3
	v_or_b32_e32 v112, 64, v112
	s_waitcnt vmcnt(0) lgkmcnt(0)
	s_waitcnt_vscnt null, 0x0
	ds_write_b32 v0, v10
	s_trap 2
.LBB6_935:                              ;   in Loop: Header=BB6_923 Depth=3
	s_or_b32 exec_lo, exec_lo, s16
.LBB6_936:                              ;   in Loop: Header=BB6_923 Depth=3
	s_or_b32 exec_lo, exec_lo, s21
	v_and_b32_e32 v1, 0x108, v112
	s_mov_b32 s16, exec_lo
	;;#ASMSTART
	s_wakeup
	;;#ASMEND
                                        ; implicit-def: $vgpr10_vgpr11
	v_cmpx_ne_u32_e32 0x108, v1
	s_xor_b32 s16, exec_lo, s16
; %bb.937:                              ;   in Loop: Header=BB6_923 Depth=3
	v_and_b32_e32 v10, 7, v68
	v_mov_b32_e32 v11, v2
                                        ; implicit-def: $vgpr68_vgpr69
; %bb.938:                              ;   in Loop: Header=BB6_923 Depth=3
	s_andn2_saveexec_b32 s16, s16
	s_cbranch_execz .LBB6_940
; %bb.939:                              ;   in Loop: Header=BB6_923 Depth=3
	v_and_b32_e32 v10, 7, v68
	v_ashrrev_i32_e32 v13, 31, v12
	v_mov_b32_e32 v11, v2
	v_mad_u64_u32 v[14:15], null, v10, 24, v[6:7]
	flat_store_dwordx2 v[14:15], v[12:13] offset:8
.LBB6_940:                              ;   in Loop: Header=BB6_923 Depth=3
	s_or_b32 exec_lo, exec_lo, s16
	v_and_b32_e32 v1, 0x100, v112
	s_mov_b32 s16, -1
	s_mov_b32 s21, exec_lo
                                        ; implicit-def: $vgpr13_vgpr14
	v_cmpx_ne_u32_e32 0, v1
	s_cbranch_execz .LBB6_944
; %bb.941:                              ;   in Loop: Header=BB6_923 Depth=3
	v_mad_u64_u32 v[15:16], null, v10, 24, v[6:7]
	s_mov_b32 s23, exec_lo
	v_mov_b32_e32 v13, v16
	v_mad_u64_u32 v[13:14], null, v11, 24, v[13:14]
	v_mov_b32_e32 v16, v13
                                        ; implicit-def: $vgpr13_vgpr14
	flat_load_dword v1, v[15:16]
	s_waitcnt vmcnt(0) lgkmcnt(0)
	v_cmp_ne_u32_e32 vcc_lo, 1, v1
	v_cmpx_eq_u32_e32 1, v1
	s_cbranch_execz .LBB6_943
; %bb.942:                              ;   in Loop: Header=BB6_923 Depth=3
	flat_load_dword v13, v[15:16] offset:4 glc dlc
	s_waitcnt vmcnt(0) lgkmcnt(0)
	v_ashrrev_i32_e32 v14, 31, v13
.LBB6_943:                              ;   in Loop: Header=BB6_923 Depth=3
	s_or_b32 exec_lo, exec_lo, s23
	s_orn2_b32 s16, vcc_lo, exec_lo
.LBB6_944:                              ;   in Loop: Header=BB6_923 Depth=3
	s_or_b32 exec_lo, exec_lo, s21
	s_and_saveexec_b32 s21, s16
; %bb.945:                              ;   in Loop: Header=BB6_923 Depth=3
	v_mul_lo_u32 v1, v11, v113
	v_mul_lo_u32 v4, v10, v114
	v_mad_u64_u32 v[13:14], null, v10, v113, 0
	v_add3_u32 v14, v14, v4, v1
; %bb.946:                              ;   in Loop: Header=BB6_923 Depth=3
	s_or_b32 exec_lo, exec_lo, s21
	v_cmp_eq_u32_e32 vcc_lo, 0, v17
	v_and_b32_e32 v4, 0x2000, v112
	s_mov_b32 s16, exec_lo
	v_cndmask_b32_e32 v1, 0xd0, v41, vcc_lo
	v_add_co_u32 v10, vcc_lo, v38, v13
	v_add_co_ci_u32_e64 v11, null, v39, v14, vcc_lo
	v_add_nc_u32_e32 v1, v0, v1
	ds_write_b64 v1, v[10:11] offset:584
	v_cmpx_ne_u32_e32 0, v4
	s_cbranch_execz .LBB6_948
; %bb.947:                              ;   in Loop: Header=BB6_923 Depth=3
	ds_read_b64 v[10:11], v0 offset:872
	s_waitcnt lgkmcnt(0)
	v_add_co_u32 v10, vcc_lo, v10, 1
	v_add_co_ci_u32_e64 v11, null, 0, v11, vcc_lo
	ds_write_b64 v0, v[10:11] offset:872
.LBB6_948:                              ;   in Loop: Header=BB6_923 Depth=3
	s_or_b32 exec_lo, exec_lo, s16
	v_mov_b32_e32 v69, v9
	v_mov_b32_e32 v68, v8
.LBB6_949:                              ;   in Loop: Header=BB6_923 Depth=3
	s_or_b32 exec_lo, exec_lo, s20
	s_xor_b32 s16, s19, -1
	s_and_b32 s16, exec_lo, s16
	s_or_b32 s18, s16, s18
	s_and_saveexec_b32 s16, s6
	s_cbranch_execz .LBB6_968
; %bb.950:                              ;   in Loop: Header=BB6_923 Depth=3
	s_and_saveexec_b32 s19, s46
	s_xor_b32 s19, exec_lo, s19
	s_cbranch_execz .LBB6_965
; %bb.951:                              ;   in Loop: Header=BB6_923 Depth=3
	s_and_saveexec_b32 s20, s11
	s_cbranch_execz .LBB6_964
; %bb.952:                              ;   in Loop: Header=BB6_923 Depth=3
	s_mov_b32 s23, exec_lo
	s_mov_b32 s21, exec_lo
	v_mbcnt_lo_u32_b32 v1, s23, 0
	s_waitcnt vmcnt(0) lgkmcnt(0)
	s_waitcnt_vscnt null, 0x0
	buffer_gl1_inv
	buffer_gl0_inv
	v_cmpx_eq_u32_e32 0, v1
	s_cbranch_execz .LBB6_954
; %bb.953:                              ;   in Loop: Header=BB6_923 Depth=3
	s_bcnt1_i32_b32 s23, s23
	v_mov_b32_e32 v9, v2
	v_mov_b32_e32 v8, s23
	ds_add_u64 v0, v[8:9]
	s_trap 2
.LBB6_954:                              ;   in Loop: Header=BB6_923 Depth=3
	s_or_b32 exec_lo, exec_lo, s21
	s_trap 2
	ds_read_b64 v[8:9], v0
	s_waitcnt lgkmcnt(0)
	buffer_gl0_inv
	v_add_co_u32 v50, vcc_lo, v50, v115
	v_add_co_ci_u32_e64 v51, null, 0, v51, vcc_lo
	s_mov_b32 s21, exec_lo
	v_cmpx_lt_u64_e64 v[8:9], v[50:51]
	s_cbranch_execz .LBB6_963
; %bb.955:                              ;   in Loop: Header=BB6_923 Depth=3
	s_mov_b32 s23, 0
	s_mov_b32 s26, 0
                                        ; implicit-def: $sgpr24
                                        ; implicit-def: $sgpr25
	s_inst_prefetch 0x1
	s_branch .LBB6_957
	.p2align	6
.LBB6_956:                              ;   in Loop: Header=BB6_957 Depth=4
	s_or_b32 exec_lo, exec_lo, s28
	s_and_b32 s27, exec_lo, s41
	s_or_b32 s23, s27, s23
	s_andn2_b32 s24, s24, exec_lo
	s_and_b32 s27, s25, exec_lo
	s_or_b32 s24, s24, s27
	s_andn2_b32 exec_lo, exec_lo, s23
	s_cbranch_execz .LBB6_961
.LBB6_957:                              ;   Parent Loop BB6_47 Depth=1
                                        ;     Parent Loop BB6_743 Depth=2
                                        ;       Parent Loop BB6_923 Depth=3
                                        ; =>      This Inner Loop Header: Depth=4
	s_add_i32 s26, s26, 1
	s_cmpk_lg_i32 s26, 0x2710
	s_cselect_b32 s27, -1, 0
	s_and_b32 vcc_lo, exec_lo, s27
	s_cbranch_vccz .LBB6_959
; %bb.958:                              ;   in Loop: Header=BB6_957 Depth=4
	s_mov_b32 s41, -1
	s_or_b32 s25, s25, exec_lo
	s_and_saveexec_b32 s28, s27
	s_cbranch_execz .LBB6_956
	s_branch .LBB6_960
	.p2align	6
.LBB6_959:                              ;   in Loop: Header=BB6_957 Depth=4
	s_trap 2
	ds_read_b64 v[8:9], v0
	s_andn2_b32 s27, s27, exec_lo
	s_mov_b32 s26, 0
	s_waitcnt lgkmcnt(0)
	flat_load_dword v1, v[8:9] glc dlc
	s_waitcnt vmcnt(0) lgkmcnt(0)
	buffer_gl1_inv
	buffer_gl0_inv
	v_cmp_eq_u32_e32 vcc_lo, 0, v1
	s_and_b32 s28, vcc_lo, exec_lo
	s_or_b32 s27, s27, s28
	s_mov_b32 s41, -1
	s_or_b32 s25, s25, exec_lo
	s_and_saveexec_b32 s28, s27
	s_cbranch_execz .LBB6_956
.LBB6_960:                              ;   in Loop: Header=BB6_957 Depth=4
	s_sleep 1
	s_trap 2
	ds_read_b64 v[8:9], v0
	s_waitcnt lgkmcnt(0)
	buffer_gl0_inv
	s_andn2_b32 s25, s25, exec_lo
	v_cmp_ge_u64_e32 vcc_lo, v[8:9], v[50:51]
	s_orn2_b32 s41, vcc_lo, exec_lo
	s_branch .LBB6_956
.LBB6_961:                              ;   in Loop: Header=BB6_923 Depth=3
	s_inst_prefetch 0x2
	s_or_b32 exec_lo, exec_lo, s23
	s_and_saveexec_b32 s23, s24
	s_xor_b32 s23, exec_lo, s23
	s_cbranch_execz .LBB6_963
; %bb.962:                              ;   in Loop: Header=BB6_923 Depth=3
	ds_write_b32 v0, v119
	s_trap 2
.LBB6_963:                              ;   in Loop: Header=BB6_923 Depth=3
	s_or_b32 exec_lo, exec_lo, s21
	;;#ASMSTART
	s_wakeup
	;;#ASMEND
.LBB6_964:                              ;   in Loop: Header=BB6_923 Depth=3
	s_or_b32 exec_lo, exec_lo, s20
.LBB6_965:                              ;   in Loop: Header=BB6_923 Depth=3
	s_andn2_saveexec_b32 s19, s19
	s_cbranch_execz .LBB6_967
; %bb.966:                              ;   in Loop: Header=BB6_923 Depth=3
	s_waitcnt vmcnt(0) lgkmcnt(0)
	s_waitcnt_vscnt null, 0x0
	buffer_gl1_inv
	buffer_gl0_inv
	s_barrier
.LBB6_967:                              ;   in Loop: Header=BB6_923 Depth=3
	s_or_b32 exec_lo, exec_lo, s19
.LBB6_968:                              ;   in Loop: Header=BB6_923 Depth=3
	s_or_b32 exec_lo, exec_lo, s16
                                        ; implicit-def: $vgpr8
	s_and_saveexec_b32 s16, s15
	s_xor_b32 s19, exec_lo, s16
	s_cbranch_execz .LBB6_972
; %bb.969:                              ;   in Loop: Header=BB6_923 Depth=3
	s_trap 2
	ds_read_b32 v1, v0
	v_cmp_lt_i32_e32 vcc_lo, 0, v12
	v_and_b32_e32 v8, 16, v112
	s_waitcnt lgkmcnt(0)
	v_readfirstlane_b32 s16, v1
	v_and_b32_e32 v1, 16, v112
	s_cmp_eq_u32 s16, 0
	v_cmp_ne_u32_e64 s16, 0, v1
	s_cselect_b32 s20, -1, 0
	s_and_b32 s20, vcc_lo, s20
	s_and_b32 s20, s16, s20
	s_and_saveexec_b32 s16, s20
	s_cbranch_execz .LBB6_971
; %bb.970:                              ;   in Loop: Header=BB6_923 Depth=3
	v_mov_b32_e32 v8, 1
	s_waitcnt vmcnt(0)
	s_waitcnt_vscnt null, 0x0
	buffer_gl1_inv
	buffer_gl0_inv
.LBB6_971:                              ;   in Loop: Header=BB6_923 Depth=3
	s_or_b32 exec_lo, exec_lo, s16
	s_andn2_saveexec_b32 s16, s19
	s_cbranch_execz .LBB6_991
	s_branch .LBB6_973
.LBB6_972:                              ;   in Loop: Header=BB6_923 Depth=3
	s_andn2_saveexec_b32 s16, s19
	s_cbranch_execz .LBB6_991
.LBB6_973:                              ;   in Loop: Header=BB6_923 Depth=3
	s_and_saveexec_b32 s19, s46
	s_xor_b32 s19, exec_lo, s19
	s_cbranch_execz .LBB6_988
; %bb.974:                              ;   in Loop: Header=BB6_923 Depth=3
	s_and_saveexec_b32 s20, s11
	s_cbranch_execz .LBB6_987
; %bb.975:                              ;   in Loop: Header=BB6_923 Depth=3
	s_mov_b32 s23, exec_lo
	s_mov_b32 s21, exec_lo
	v_mbcnt_lo_u32_b32 v1, s23, 0
	;;#ASMSTART
	s_waitcnt lgkmcnt(0) vmcnt(0)
	;;#ASMEND
	v_cmpx_eq_u32_e32 0, v1
	s_cbranch_execz .LBB6_977
; %bb.976:                              ;   in Loop: Header=BB6_923 Depth=3
	s_bcnt1_i32_b32 s23, s23
	v_mov_b32_e32 v9, v2
	v_mov_b32_e32 v8, s23
	s_waitcnt vmcnt(0) lgkmcnt(0)
	s_waitcnt_vscnt null, 0x0
	ds_add_u64 v0, v[8:9]
	s_trap 2
.LBB6_977:                              ;   in Loop: Header=BB6_923 Depth=3
	s_or_b32 exec_lo, exec_lo, s21
	s_trap 2
	ds_read_b64 v[8:9], v0
	s_waitcnt vmcnt(0) lgkmcnt(0)
	buffer_gl0_inv
	v_add_co_u32 v50, vcc_lo, v50, v115
	v_add_co_ci_u32_e64 v51, null, 0, v51, vcc_lo
	s_mov_b32 s21, exec_lo
	v_cmpx_lt_u64_e64 v[8:9], v[50:51]
	s_cbranch_execz .LBB6_986
; %bb.978:                              ;   in Loop: Header=BB6_923 Depth=3
	s_mov_b32 s23, 0
	s_mov_b32 s26, 0
                                        ; implicit-def: $sgpr24
                                        ; implicit-def: $sgpr25
	s_inst_prefetch 0x1
	s_branch .LBB6_980
	.p2align	6
.LBB6_979:                              ;   in Loop: Header=BB6_980 Depth=4
	s_or_b32 exec_lo, exec_lo, s28
	s_and_b32 s27, exec_lo, s41
	s_or_b32 s23, s27, s23
	s_andn2_b32 s24, s24, exec_lo
	s_and_b32 s27, s25, exec_lo
	s_or_b32 s24, s24, s27
	s_andn2_b32 exec_lo, exec_lo, s23
	s_cbranch_execz .LBB6_984
.LBB6_980:                              ;   Parent Loop BB6_47 Depth=1
                                        ;     Parent Loop BB6_743 Depth=2
                                        ;       Parent Loop BB6_923 Depth=3
                                        ; =>      This Inner Loop Header: Depth=4
	s_add_i32 s26, s26, 1
	s_cmpk_lg_i32 s26, 0x2710
	s_cselect_b32 s27, -1, 0
	s_and_b32 vcc_lo, exec_lo, s27
	s_cbranch_vccz .LBB6_982
; %bb.981:                              ;   in Loop: Header=BB6_980 Depth=4
	s_mov_b32 s41, -1
	s_or_b32 s25, s25, exec_lo
	s_and_saveexec_b32 s28, s27
	s_cbranch_execz .LBB6_979
	s_branch .LBB6_983
	.p2align	6
.LBB6_982:                              ;   in Loop: Header=BB6_980 Depth=4
	s_trap 2
	ds_read_b64 v[8:9], v0
	s_andn2_b32 s27, s27, exec_lo
	s_mov_b32 s26, 0
	s_waitcnt lgkmcnt(0)
	s_waitcnt_vscnt null, 0x0
	flat_load_dword v1, v[8:9] glc dlc
	s_waitcnt vmcnt(0) lgkmcnt(0)
	buffer_gl1_inv
	buffer_gl0_inv
	v_cmp_eq_u32_e32 vcc_lo, 0, v1
	s_and_b32 s28, vcc_lo, exec_lo
	s_or_b32 s27, s27, s28
	s_mov_b32 s41, -1
	s_or_b32 s25, s25, exec_lo
	s_and_saveexec_b32 s28, s27
	s_cbranch_execz .LBB6_979
.LBB6_983:                              ;   in Loop: Header=BB6_980 Depth=4
	s_sleep 1
	s_trap 2
	ds_read_b64 v[8:9], v0
	s_waitcnt lgkmcnt(0)
	buffer_gl0_inv
	s_andn2_b32 s25, s25, exec_lo
	v_cmp_ge_u64_e32 vcc_lo, v[8:9], v[50:51]
	s_orn2_b32 s41, vcc_lo, exec_lo
	s_branch .LBB6_979
.LBB6_984:                              ;   in Loop: Header=BB6_923 Depth=3
	s_inst_prefetch 0x2
	s_or_b32 exec_lo, exec_lo, s23
	s_and_saveexec_b32 s23, s24
	s_xor_b32 s23, exec_lo, s23
	s_cbranch_execz .LBB6_986
; %bb.985:                              ;   in Loop: Header=BB6_923 Depth=3
	ds_write_b32 v0, v119
	s_trap 2
.LBB6_986:                              ;   in Loop: Header=BB6_923 Depth=3
	s_or_b32 exec_lo, exec_lo, s21
	;;#ASMSTART
	s_wakeup
	;;#ASMEND
.LBB6_987:                              ;   in Loop: Header=BB6_923 Depth=3
	s_or_b32 exec_lo, exec_lo, s20
.LBB6_988:                              ;   in Loop: Header=BB6_923 Depth=3
	s_andn2_saveexec_b32 s19, s19
	s_cbranch_execz .LBB6_990
; %bb.989:                              ;   in Loop: Header=BB6_923 Depth=3
	;;#ASMSTART
	s_waitcnt lgkmcnt(0) vmcnt(0)
	;;#ASMEND
	s_barrier
.LBB6_990:                              ;   in Loop: Header=BB6_923 Depth=3
	s_or_b32 exec_lo, exec_lo, s19
	v_and_b32_e32 v8, 16, v112
.LBB6_991:                              ;   in Loop: Header=BB6_923 Depth=3
	s_or_b32 exec_lo, exec_lo, s16
	v_cmp_ne_u32_e32 vcc_lo, 0, v8
	s_xor_b32 s16, s7, -1
	s_and_b32 s19, vcc_lo, s16
	s_and_saveexec_b32 s16, s19
	s_cbranch_execz .LBB6_993
; %bb.992:                              ;   in Loop: Header=BB6_923 Depth=3
	s_waitcnt vmcnt(0) lgkmcnt(0)
	s_waitcnt_vscnt null, 0x0
	flat_store_dword v[48:49], v119
.LBB6_993:                              ;   in Loop: Header=BB6_923 Depth=3
	s_or_b32 exec_lo, exec_lo, s16
	v_and_b32_e32 v1, 48, v112
	s_mov_b32 s16, exec_lo
	v_cmpx_ne_u32_e32 0, v1
	s_cbranch_execz .LBB6_922
; %bb.994:                              ;   in Loop: Header=BB6_923 Depth=3
	v_add_co_u32 v68, vcc_lo, v68, 2
	v_add_co_ci_u32_e64 v69, null, 0, v69, vcc_lo
	s_waitcnt vmcnt(0) lgkmcnt(0)
	s_waitcnt_vscnt null, 0x0
	flat_store_dwordx2 v[36:37], v[68:69]
	s_branch .LBB6_922
.LBB6_995:                              ;   in Loop: Header=BB6_743 Depth=2
	s_or_b32 exec_lo, exec_lo, s18
.LBB6_996:                              ;   in Loop: Header=BB6_743 Depth=2
	s_or_b32 exec_lo, exec_lo, s17
	s_add_i32 s16, s22, 1
	s_cmp_eq_u32 s22, s63
	s_cbranch_scc1 .LBB6_998
; %bb.997:                              ;   in Loop: Header=BB6_743 Depth=2
	s_mov_b32 s22, s16
	s_branch .LBB6_743
.LBB6_998:                              ;   in Loop: Header=BB6_47 Depth=1
	v_mul_lo_u32 v1, v67, s73
	v_mul_lo_u32 v3, v66, s74
	v_mad_u64_u32 v[8:9], null, v66, s73, 0
	v_mov_b32_e32 v17, 0
	v_add3_u32 v9, v9, v3, v1
	s_clause 0x1
	buffer_load_dword v3, off, s[0:3], s33 offset:188
	buffer_load_dword v4, off, s[0:3], s33 offset:192
	s_waitcnt vmcnt(1)
	v_sub_co_u32 v10, vcc_lo, v3, v8
	s_waitcnt vmcnt(0)
	v_sub_co_ci_u32_e64 v11, null, v4, v9, vcc_lo
	v_cmp_lt_i64_e32 vcc_lo, v[66:67], v[10:11]
	v_cndmask_b32_e32 v1, v10, v66, vcc_lo
	v_mov_b32_e32 v10, 0
	v_max_i32_e32 v3, 0, v1
	v_cmp_lt_i32_e32 vcc_lo, 0, v1
	v_add_nc_u32_e32 v4, 31, v3
	s_and_b32 s16, s72, vcc_lo
	v_lshrrev_b32_e32 v4, 1, v4
	v_and_b32_e32 v4, 0x3ffffff0, v4
	v_max_i32_e32 v16, s60, v4
	s_and_saveexec_b32 s18, s16
	s_cbranch_execz .LBB6_1136
; %bb.999:                              ;   in Loop: Header=BB6_47 Depth=1
	v_add_co_u32 v18, vcc_lo, v8, v72
	v_add_co_ci_u32_e64 v19, null, v9, v73, vcc_lo
	v_mov_b32_e32 v17, 0
	s_mov_b32 s21, 1
	s_mov_b32 s20, -1
	s_mov_b32 s19, 0
	s_branch .LBB6_1001
.LBB6_1000:                             ;   in Loop: Header=BB6_1001 Depth=2
	s_or_b32 exec_lo, exec_lo, s16
	v_add_nc_u32_e32 v17, v16, v17
	s_xor_b32 s16, s20, -1
	v_mov_b32_e32 v10, s21
	s_mov_b32 s20, 0
	s_mov_b32 s21, 2
	v_cmp_ge_i32_e32 vcc_lo, v17, v3
	s_or_b32 s16, s16, vcc_lo
	s_and_b32 s16, exec_lo, s16
	s_or_b32 s19, s16, s19
	s_andn2_b32 exec_lo, exec_lo, s19
	s_cbranch_execz .LBB6_1135
.LBB6_1001:                             ;   Parent Loop BB6_47 Depth=1
                                        ; =>  This Loop Header: Depth=2
                                        ;       Child Loop BB6_1009 Depth 3
                                        ;       Child Loop BB6_1033 Depth 3
	;; [unrolled: 1-line block ×9, first 2 shown]
	s_and_saveexec_b32 s17, s4
	s_cbranch_execz .LBB6_1003
; %bb.1002:                             ;   in Loop: Header=BB6_1001 Depth=2
	s_trap 2
	ds_read_b128 v[8:11], v0
	v_ashrrev_i32_e32 v1, 31, v17
	s_waitcnt lgkmcnt(0)
	v_add_co_u32 v4, vcc_lo, v10, v18
	v_add_co_ci_u32_e64 v5, null, v11, v19, vcc_lo
	v_add_co_u32 v8, vcc_lo, v8, v18
	v_add_co_ci_u32_e64 v9, null, v9, v19, vcc_lo
	;; [unrolled: 2-line block ×3, first 2 shown]
	v_cmp_ne_u64_e32 vcc_lo, 0, v[10:11]
	v_add_co_u32 v8, s16, v8, v17
	v_add_co_ci_u32_e64 v9, null, v9, v1, s16
	v_cndmask_b32_e32 v11, 0, v5, vcc_lo
	v_cndmask_b32_e32 v10, 0, v4, vcc_lo
	ds_write_b64 v0, v[8:9]
	ds_write_b64 v0, v[10:11]
.LBB6_1003:                             ;   in Loop: Header=BB6_1001 Depth=2
	s_or_b32 exec_lo, exec_lo, s17
	v_and_b32_e32 v1, 4, v112
	s_mov_b32 s17, exec_lo
	v_cmpx_ne_u32_e32 0, v1
	s_cbranch_execz .LBB6_1025
; %bb.1004:                             ;   in Loop: Header=BB6_1001 Depth=2
	v_add_co_u32 v8, vcc_lo, v68, 2
	v_add_co_ci_u32_e64 v9, null, 0, v69, vcc_lo
	s_mov_b32 s22, exec_lo
	s_waitcnt vmcnt(0) lgkmcnt(1)
	v_cmpx_lt_u64_e64 v[52:53], v[8:9]
	s_cbranch_execz .LBB6_1016
; %bb.1005:                             ;   in Loop: Header=BB6_1001 Depth=2
	v_and_b32_e32 v1, 64, v112
	s_mov_b32 s23, 0
	s_mov_b32 s27, 0
                                        ; implicit-def: $sgpr24
                                        ; implicit-def: $sgpr25
                                        ; implicit-def: $sgpr26
	v_cmp_eq_u32_e32 vcc_lo, 0, v1
	s_branch .LBB6_1009
.LBB6_1006:                             ;   in Loop: Header=BB6_1009 Depth=3
	s_waitcnt vmcnt(0) lgkmcnt(0)
	v_cmp_ge_u64_e64 s16, v[52:53], v[8:9]
	s_or_b32 s76, s76, exec_lo
	s_orn2_b32 s41, s16, exec_lo
.LBB6_1007:                             ;   in Loop: Header=BB6_1009 Depth=3
	s_or_b32 exec_lo, exec_lo, s78
	s_andn2_b32 s16, s26, exec_lo
	s_and_b32 s26, s76, exec_lo
	s_andn2_b32 s25, s25, exec_lo
	s_and_b32 s41, s41, exec_lo
	s_or_b32 s26, s16, s26
	s_or_b32 s25, s25, s41
.LBB6_1008:                             ;   in Loop: Header=BB6_1009 Depth=3
	s_or_b32 exec_lo, exec_lo, s28
	s_and_b32 s16, exec_lo, s25
	s_or_b32 s23, s16, s23
	s_andn2_b32 s16, s24, exec_lo
	s_and_b32 s24, s26, exec_lo
	s_or_b32 s24, s16, s24
	s_andn2_b32 exec_lo, exec_lo, s23
	s_cbranch_execz .LBB6_1013
.LBB6_1009:                             ;   Parent Loop BB6_47 Depth=1
                                        ;     Parent Loop BB6_1001 Depth=2
                                        ; =>    This Inner Loop Header: Depth=3
	s_sleep 1
	s_waitcnt vmcnt(0) lgkmcnt(0)
	flat_load_dwordx2 v[52:53], v[36:37] glc dlc
	s_or_b32 s26, s26, exec_lo
	s_or_b32 s25, s25, exec_lo
                                        ; implicit-def: $vgpr10
	s_and_saveexec_b32 s28, vcc_lo
	s_cbranch_execz .LBB6_1008
; %bb.1010:                             ;   in Loop: Header=BB6_1009 Depth=3
	s_cmpk_lt_i32 s27, 0x270f
	s_mov_b32 s41, -1
	s_cselect_b32 s77, -1, 0
	s_cmpk_gt_i32 s27, 0x270e
	s_cbranch_scc0 .LBB6_1012
; %bb.1011:                             ;   in Loop: Header=BB6_1009 Depth=3
	s_trap 2
	ds_read_b64 v[10:11], v0
	s_andn2_b32 s27, s77, exec_lo
	s_mov_b32 s76, 0
	s_waitcnt vmcnt(0) lgkmcnt(0)
	s_waitcnt_vscnt null, 0x0
	flat_load_dword v10, v[10:11] glc dlc
	s_waitcnt vmcnt(0) lgkmcnt(0)
	buffer_gl1_inv
	buffer_gl0_inv
	v_cmp_eq_u32_e64 s16, 0, v10
	s_and_b32 s16, s16, exec_lo
	s_or_b32 s77, s27, s16
	s_mov_b32 s27, 0
	s_and_saveexec_b32 s78, s77
	s_cbranch_execz .LBB6_1007
	s_branch .LBB6_1006
.LBB6_1012:                             ;   in Loop: Header=BB6_1009 Depth=3
	s_add_i32 s27, s27, 1
	s_mov_b32 s76, -1
                                        ; implicit-def: $vgpr10
	s_and_saveexec_b32 s78, s77
	s_cbranch_execz .LBB6_1007
	s_branch .LBB6_1006
.LBB6_1013:                             ;   in Loop: Header=BB6_1001 Depth=2
	s_or_b32 exec_lo, exec_lo, s23
	s_xor_b32 s16, s24, -1
	s_and_saveexec_b32 s23, s16
	s_xor_b32 s16, exec_lo, s23
	s_cbranch_execz .LBB6_1015
; %bb.1014:                             ;   in Loop: Header=BB6_1001 Depth=2
	v_or_b32_e32 v112, 64, v112
	s_waitcnt vmcnt(0) lgkmcnt(0)
	s_waitcnt_vscnt null, 0x0
	ds_write_b32 v0, v10
	s_trap 2
.LBB6_1015:                             ;   in Loop: Header=BB6_1001 Depth=2
	s_or_b32 exec_lo, exec_lo, s16
.LBB6_1016:                             ;   in Loop: Header=BB6_1001 Depth=2
	s_or_b32 exec_lo, exec_lo, s22
	v_and_b32_e32 v1, 0x100, v112
	v_and_b32_e32 v14, 7, v68
	s_mov_b32 s16, -1
	s_mov_b32 s22, exec_lo
	;;#ASMSTART
	s_wakeup
	;;#ASMEND
                                        ; implicit-def: $vgpr10_vgpr11
	v_cmpx_ne_u32_e32 0, v1
	s_cbranch_execz .LBB6_1020
; %bb.1017:                             ;   in Loop: Header=BB6_1001 Depth=2
	v_mad_u64_u32 v[12:13], null, v14, 24, v[6:7]
	s_mov_b32 s23, exec_lo
                                        ; implicit-def: $vgpr10_vgpr11
	flat_load_dword v1, v[12:13]
	s_waitcnt vmcnt(0) lgkmcnt(0)
	v_cmp_ne_u32_e32 vcc_lo, 1, v1
	v_cmpx_eq_u32_e32 1, v1
	s_cbranch_execz .LBB6_1019
; %bb.1018:                             ;   in Loop: Header=BB6_1001 Depth=2
	flat_load_dword v10, v[12:13] offset:4 glc dlc
	s_waitcnt vmcnt(0) lgkmcnt(0)
	v_ashrrev_i32_e32 v11, 31, v10
.LBB6_1019:                             ;   in Loop: Header=BB6_1001 Depth=2
	s_or_b32 exec_lo, exec_lo, s23
	s_orn2_b32 s16, vcc_lo, exec_lo
.LBB6_1020:                             ;   in Loop: Header=BB6_1001 Depth=2
	s_or_b32 exec_lo, exec_lo, s22
	s_and_saveexec_b32 s22, s16
; %bb.1021:                             ;   in Loop: Header=BB6_1001 Depth=2
	v_mad_i64_i32 v[10:11], null, v14, v113, 0
; %bb.1022:                             ;   in Loop: Header=BB6_1001 Depth=2
	s_or_b32 exec_lo, exec_lo, s22
	v_add_co_u32 v10, vcc_lo, v38, v10
	v_and_b32_e32 v1, 0x2000, v112
	v_add_co_ci_u32_e64 v11, null, v39, v11, vcc_lo
	s_mov_b32 s16, exec_lo
	ds_write_b64 v0, v[10:11] offset:720
	v_cmpx_ne_u32_e32 0, v1
	s_cbranch_execz .LBB6_1024
; %bb.1023:                             ;   in Loop: Header=BB6_1001 Depth=2
	ds_read_b64 v[10:11], v0 offset:872
	s_waitcnt lgkmcnt(0)
	v_add_co_u32 v10, vcc_lo, v10, 1
	v_add_co_ci_u32_e64 v11, null, 0, v11, vcc_lo
	ds_write_b64 v0, v[10:11] offset:872
.LBB6_1024:                             ;   in Loop: Header=BB6_1001 Depth=2
	s_or_b32 exec_lo, exec_lo, s16
	v_mov_b32_e32 v69, v9
	v_mov_b32_e32 v68, v8
.LBB6_1025:                             ;   in Loop: Header=BB6_1001 Depth=2
	s_or_b32 exec_lo, exec_lo, s17
	s_and_saveexec_b32 s16, s6
	s_cbranch_execz .LBB6_1044
; %bb.1026:                             ;   in Loop: Header=BB6_1001 Depth=2
	s_and_saveexec_b32 s17, s46
	s_xor_b32 s17, exec_lo, s17
	s_cbranch_execz .LBB6_1041
; %bb.1027:                             ;   in Loop: Header=BB6_1001 Depth=2
	s_and_saveexec_b32 s22, s11
	s_cbranch_execz .LBB6_1040
; %bb.1028:                             ;   in Loop: Header=BB6_1001 Depth=2
	s_mov_b32 s24, exec_lo
	s_mov_b32 s23, exec_lo
	v_mbcnt_lo_u32_b32 v1, s24, 0
	s_waitcnt vmcnt(0) lgkmcnt(0)
	s_waitcnt_vscnt null, 0x0
	buffer_gl1_inv
	buffer_gl0_inv
	v_cmpx_eq_u32_e32 0, v1
	s_cbranch_execz .LBB6_1030
; %bb.1029:                             ;   in Loop: Header=BB6_1001 Depth=2
	s_bcnt1_i32_b32 s24, s24
	v_mov_b32_e32 v9, v2
	v_mov_b32_e32 v8, s24
	ds_add_u64 v0, v[8:9]
	s_trap 2
.LBB6_1030:                             ;   in Loop: Header=BB6_1001 Depth=2
	s_or_b32 exec_lo, exec_lo, s23
	s_trap 2
	ds_read_b64 v[8:9], v0
	s_waitcnt lgkmcnt(0)
	buffer_gl0_inv
	v_add_co_u32 v50, vcc_lo, v50, v115
	v_add_co_ci_u32_e64 v51, null, 0, v51, vcc_lo
	s_mov_b32 s23, exec_lo
	v_cmpx_lt_u64_e64 v[8:9], v[50:51]
	s_cbranch_execz .LBB6_1039
; %bb.1031:                             ;   in Loop: Header=BB6_1001 Depth=2
	s_mov_b32 s24, 0
	s_mov_b32 s27, 0
                                        ; implicit-def: $sgpr25
                                        ; implicit-def: $sgpr26
	s_inst_prefetch 0x1
	s_branch .LBB6_1033
	.p2align	6
.LBB6_1032:                             ;   in Loop: Header=BB6_1033 Depth=3
	s_or_b32 exec_lo, exec_lo, s41
	s_and_b32 s28, exec_lo, s76
	s_or_b32 s24, s28, s24
	s_andn2_b32 s25, s25, exec_lo
	s_and_b32 s28, s26, exec_lo
	s_or_b32 s25, s25, s28
	s_andn2_b32 exec_lo, exec_lo, s24
	s_cbranch_execz .LBB6_1037
.LBB6_1033:                             ;   Parent Loop BB6_47 Depth=1
                                        ;     Parent Loop BB6_1001 Depth=2
                                        ; =>    This Inner Loop Header: Depth=3
	s_add_i32 s27, s27, 1
	s_cmpk_lg_i32 s27, 0x2710
	s_cselect_b32 s28, -1, 0
	s_and_b32 vcc_lo, exec_lo, s28
	s_cbranch_vccz .LBB6_1035
; %bb.1034:                             ;   in Loop: Header=BB6_1033 Depth=3
	s_mov_b32 s76, -1
	s_or_b32 s26, s26, exec_lo
	s_and_saveexec_b32 s41, s28
	s_cbranch_execz .LBB6_1032
	s_branch .LBB6_1036
	.p2align	6
.LBB6_1035:                             ;   in Loop: Header=BB6_1033 Depth=3
	s_trap 2
	ds_read_b64 v[8:9], v0
	s_andn2_b32 s28, s28, exec_lo
	s_mov_b32 s27, 0
	s_waitcnt lgkmcnt(0)
	flat_load_dword v1, v[8:9] glc dlc
	s_waitcnt vmcnt(0) lgkmcnt(0)
	buffer_gl1_inv
	buffer_gl0_inv
	v_cmp_eq_u32_e32 vcc_lo, 0, v1
	s_and_b32 s41, vcc_lo, exec_lo
	s_or_b32 s28, s28, s41
	s_mov_b32 s76, -1
	s_or_b32 s26, s26, exec_lo
	s_and_saveexec_b32 s41, s28
	s_cbranch_execz .LBB6_1032
.LBB6_1036:                             ;   in Loop: Header=BB6_1033 Depth=3
	s_sleep 1
	s_trap 2
	ds_read_b64 v[8:9], v0
	s_waitcnt lgkmcnt(0)
	buffer_gl0_inv
	s_andn2_b32 s26, s26, exec_lo
	v_cmp_ge_u64_e32 vcc_lo, v[8:9], v[50:51]
	s_orn2_b32 s76, vcc_lo, exec_lo
	s_branch .LBB6_1032
.LBB6_1037:                             ;   in Loop: Header=BB6_1001 Depth=2
	s_inst_prefetch 0x2
	s_or_b32 exec_lo, exec_lo, s24
	s_and_saveexec_b32 s24, s25
	s_xor_b32 s24, exec_lo, s24
	s_cbranch_execz .LBB6_1039
; %bb.1038:                             ;   in Loop: Header=BB6_1001 Depth=2
	ds_write_b32 v0, v119
	s_trap 2
.LBB6_1039:                             ;   in Loop: Header=BB6_1001 Depth=2
	s_or_b32 exec_lo, exec_lo, s23
	;;#ASMSTART
	s_wakeup
	;;#ASMEND
.LBB6_1040:                             ;   in Loop: Header=BB6_1001 Depth=2
	s_or_b32 exec_lo, exec_lo, s22
.LBB6_1041:                             ;   in Loop: Header=BB6_1001 Depth=2
	s_andn2_saveexec_b32 s17, s17
	s_cbranch_execz .LBB6_1043
; %bb.1042:                             ;   in Loop: Header=BB6_1001 Depth=2
	s_waitcnt vmcnt(0) lgkmcnt(0)
	s_waitcnt_vscnt null, 0x0
	buffer_gl1_inv
	buffer_gl0_inv
	s_barrier
.LBB6_1043:                             ;   in Loop: Header=BB6_1001 Depth=2
	s_or_b32 exec_lo, exec_lo, s17
.LBB6_1044:                             ;   in Loop: Header=BB6_1001 Depth=2
	s_or_b32 exec_lo, exec_lo, s16
	s_trap 2
	ds_read_b32 v12, v0
	v_and_b32_e32 v1, 0x4000, v112
	s_xor_b32 s16, s5, -1
	v_cmp_ne_u32_e32 vcc_lo, 0, v1
	s_and_b32 s17, s16, vcc_lo
	s_and_saveexec_b32 s16, s17
	s_cbranch_execz .LBB6_1063
; %bb.1045:                             ;   in Loop: Header=BB6_1001 Depth=2
	s_and_saveexec_b32 s17, s46
	s_xor_b32 s17, exec_lo, s17
	s_cbranch_execz .LBB6_1060
; %bb.1046:                             ;   in Loop: Header=BB6_1001 Depth=2
	s_and_saveexec_b32 s22, s11
	s_cbranch_execz .LBB6_1059
; %bb.1047:                             ;   in Loop: Header=BB6_1001 Depth=2
	s_mov_b32 s24, exec_lo
	s_mov_b32 s23, exec_lo
	v_mbcnt_lo_u32_b32 v1, s24, 0
	s_waitcnt vmcnt(0) lgkmcnt(0)
	s_waitcnt_vscnt null, 0x0
	buffer_gl1_inv
	buffer_gl0_inv
	v_cmpx_eq_u32_e32 0, v1
	s_cbranch_execz .LBB6_1049
; %bb.1048:                             ;   in Loop: Header=BB6_1001 Depth=2
	s_bcnt1_i32_b32 s24, s24
	v_mov_b32_e32 v9, v2
	v_mov_b32_e32 v8, s24
	ds_add_u64 v0, v[8:9]
	s_trap 2
.LBB6_1049:                             ;   in Loop: Header=BB6_1001 Depth=2
	s_or_b32 exec_lo, exec_lo, s23
	s_trap 2
	ds_read_b64 v[8:9], v0
	s_waitcnt lgkmcnt(0)
	buffer_gl0_inv
	v_add_co_u32 v50, vcc_lo, v50, v115
	v_add_co_ci_u32_e64 v51, null, 0, v51, vcc_lo
	s_mov_b32 s23, exec_lo
	v_cmpx_lt_u64_e64 v[8:9], v[50:51]
	s_cbranch_execz .LBB6_1058
; %bb.1050:                             ;   in Loop: Header=BB6_1001 Depth=2
	s_mov_b32 s24, 0
	s_mov_b32 s27, 0
                                        ; implicit-def: $sgpr25
                                        ; implicit-def: $sgpr26
	s_inst_prefetch 0x1
	s_branch .LBB6_1052
	.p2align	6
.LBB6_1051:                             ;   in Loop: Header=BB6_1052 Depth=3
	s_or_b32 exec_lo, exec_lo, s41
	s_and_b32 s28, exec_lo, s76
	s_or_b32 s24, s28, s24
	s_andn2_b32 s25, s25, exec_lo
	s_and_b32 s28, s26, exec_lo
	s_or_b32 s25, s25, s28
	s_andn2_b32 exec_lo, exec_lo, s24
	s_cbranch_execz .LBB6_1056
.LBB6_1052:                             ;   Parent Loop BB6_47 Depth=1
                                        ;     Parent Loop BB6_1001 Depth=2
                                        ; =>    This Inner Loop Header: Depth=3
	s_add_i32 s27, s27, 1
	s_cmpk_lg_i32 s27, 0x2710
	s_cselect_b32 s28, -1, 0
	s_and_b32 vcc_lo, exec_lo, s28
	s_cbranch_vccz .LBB6_1054
; %bb.1053:                             ;   in Loop: Header=BB6_1052 Depth=3
	s_mov_b32 s76, -1
	s_or_b32 s26, s26, exec_lo
	s_and_saveexec_b32 s41, s28
	s_cbranch_execz .LBB6_1051
	s_branch .LBB6_1055
	.p2align	6
.LBB6_1054:                             ;   in Loop: Header=BB6_1052 Depth=3
	s_trap 2
	ds_read_b64 v[8:9], v0
	s_andn2_b32 s28, s28, exec_lo
	s_mov_b32 s27, 0
	s_waitcnt lgkmcnt(0)
	flat_load_dword v1, v[8:9] glc dlc
	s_waitcnt vmcnt(0) lgkmcnt(0)
	buffer_gl1_inv
	buffer_gl0_inv
	v_cmp_eq_u32_e32 vcc_lo, 0, v1
	s_and_b32 s41, vcc_lo, exec_lo
	s_or_b32 s28, s28, s41
	s_mov_b32 s76, -1
	s_or_b32 s26, s26, exec_lo
	s_and_saveexec_b32 s41, s28
	s_cbranch_execz .LBB6_1051
.LBB6_1055:                             ;   in Loop: Header=BB6_1052 Depth=3
	s_sleep 1
	s_trap 2
	ds_read_b64 v[8:9], v0
	s_waitcnt lgkmcnt(0)
	buffer_gl0_inv
	s_andn2_b32 s26, s26, exec_lo
	v_cmp_ge_u64_e32 vcc_lo, v[8:9], v[50:51]
	s_orn2_b32 s76, vcc_lo, exec_lo
	s_branch .LBB6_1051
.LBB6_1056:                             ;   in Loop: Header=BB6_1001 Depth=2
	s_inst_prefetch 0x2
	s_or_b32 exec_lo, exec_lo, s24
	s_and_saveexec_b32 s24, s25
	s_xor_b32 s24, exec_lo, s24
	s_cbranch_execz .LBB6_1058
; %bb.1057:                             ;   in Loop: Header=BB6_1001 Depth=2
	ds_write_b32 v0, v119
	s_trap 2
.LBB6_1058:                             ;   in Loop: Header=BB6_1001 Depth=2
	s_or_b32 exec_lo, exec_lo, s23
	;;#ASMSTART
	s_wakeup
	;;#ASMEND
.LBB6_1059:                             ;   in Loop: Header=BB6_1001 Depth=2
	s_or_b32 exec_lo, exec_lo, s22
.LBB6_1060:                             ;   in Loop: Header=BB6_1001 Depth=2
	s_andn2_saveexec_b32 s17, s17
	s_cbranch_execz .LBB6_1062
; %bb.1061:                             ;   in Loop: Header=BB6_1001 Depth=2
	s_waitcnt vmcnt(0) lgkmcnt(0)
	s_waitcnt_vscnt null, 0x0
	buffer_gl1_inv
	buffer_gl0_inv
	s_barrier
.LBB6_1062:                             ;   in Loop: Header=BB6_1001 Depth=2
	s_or_b32 exec_lo, exec_lo, s17
.LBB6_1063:                             ;   in Loop: Header=BB6_1001 Depth=2
	s_or_b32 exec_lo, exec_lo, s16
	s_trap 2
	ds_read_b64 v[8:9], v0
	v_sub_nc_u32_e32 v1, v3, v17
	v_min_i32_e32 v16, v16, v1
	s_waitcnt lgkmcnt(0)
	v_cmp_eq_u64_e32 vcc_lo, 0, v[8:9]
	s_cbranch_vccnz .LBB6_1071
; %bb.1064:                             ;   in Loop: Header=BB6_1001 Depth=2
	s_trap 2
	ds_read_b64 v[10:11], v0
	s_waitcnt lgkmcnt(0)
	v_cmp_eq_u64_e32 vcc_lo, 0, v[10:11]
	s_cbranch_vccnz .LBB6_1071
; %bb.1065:                             ;   in Loop: Header=BB6_1001 Depth=2
	s_mov_b32 s16, -1
	s_and_saveexec_b32 s17, s13
	s_cbranch_execz .LBB6_1067
; %bb.1066:                             ;   in Loop: Header=BB6_1001 Depth=2
	ds_read_b32 v1, v0 offset:720
	s_waitcnt lgkmcnt(0)
	v_and_b32_e32 v1, 15, v1
	v_cmp_eq_u32_e32 vcc_lo, 0, v1
	s_orn2_b32 s16, vcc_lo, exec_lo
.LBB6_1067:                             ;   in Loop: Header=BB6_1001 Depth=2
	s_or_b32 exec_lo, exec_lo, s17
	s_and_saveexec_b32 s17, s12
	s_cbranch_execz .LBB6_1069
; %bb.1068:                             ;   in Loop: Header=BB6_1001 Depth=2
	ds_read_b32 v1, v0 offset:784
	s_waitcnt lgkmcnt(0)
	v_and_b32_e32 v1, 15, v1
	v_cmp_eq_u32_e32 vcc_lo, 0, v1
	s_and_b32 s22, s16, vcc_lo
	s_andn2_b32 s16, s16, exec_lo
	s_and_b32 s22, s22, exec_lo
	s_or_b32 s16, s16, s22
.LBB6_1069:                             ;   in Loop: Header=BB6_1001 Depth=2
	s_or_b32 exec_lo, exec_lo, s17
	v_cmp_eq_u32_e32 vcc_lo, 0, v12
	s_xor_b32 s16, s16, -1
	v_mov_b32_e32 v12, 0
	v_cndmask_b32_e64 v1, 0, 1, s16
	v_mov_b32_e32 v14, v0
	v_cndmask_b32_e32 v20, 0, v16, vcc_lo
	s_mov_b32 s16, -1
	v_cmp_ne_u32_e32 vcc_lo, 0, v1
	v_mov_b32_e32 v13, v20
	s_cbranch_vccz .LBB6_1076
; %bb.1070:                             ;   in Loop: Header=BB6_1001 Depth=2
	s_and_saveexec_b32 s17, s16
	s_cbranch_execnz .LBB6_1087
	s_branch .LBB6_1095
.LBB6_1071:                             ;   in Loop: Header=BB6_1001 Depth=2
	s_mov_b32 s16, 0
	s_and_saveexec_b32 s17, s6
	s_cbranch_execnz .LBB6_1096
.LBB6_1072:                             ;   in Loop: Header=BB6_1001 Depth=2
	s_or_b32 exec_lo, exec_lo, s17
	s_and_saveexec_b32 s17, s15
	s_xor_b32 s17, exec_lo, s17
	s_cbranch_execz .LBB6_1114
.LBB6_1073:                             ;   in Loop: Header=BB6_1001 Depth=2
	v_and_b32_e32 v1, 16, v112
	v_cmp_ne_u32_e32 vcc_lo, 0, v1
	s_and_b32 s22, vcc_lo, s16
	s_and_saveexec_b32 s16, s22
	s_cbranch_execz .LBB6_1075
; %bb.1074:                             ;   in Loop: Header=BB6_1001 Depth=2
	s_waitcnt vmcnt(0) lgkmcnt(0)
	s_waitcnt_vscnt null, 0x0
	buffer_gl1_inv
	buffer_gl0_inv
.LBB6_1075:                             ;   in Loop: Header=BB6_1001 Depth=2
	s_or_b32 exec_lo, exec_lo, s16
	s_andn2_saveexec_b32 s16, s17
	s_cbranch_execz .LBB6_1133
	s_branch .LBB6_1115
.LBB6_1076:                             ;   in Loop: Header=BB6_1001 Depth=2
	v_ashrrev_i32_e32 v1, 31, v20
	s_mov_b32 s17, exec_lo
	v_lshrrev_b32_e32 v1, 20, v1
	v_add_nc_u32_e32 v1, v20, v1
	v_ashrrev_i32_e32 v22, 12, v1
	v_sub_nc_u32_e32 v21, v22, v117
	v_cmpx_lt_i32_e32 0, v21
	s_cbranch_execz .LBB6_1080
; %bb.1077:                             ;   in Loop: Header=BB6_1001 Depth=2
	v_mov_b32_e32 v13, v11
	v_mov_b32_e32 v15, v9
	;; [unrolled: 1-line block ×4, first 2 shown]
	s_mov_b32 s22, 0
.LBB6_1078:                             ;   Parent Loop BB6_47 Depth=1
                                        ;     Parent Loop BB6_1001 Depth=2
                                        ; =>    This Inner Loop Header: Depth=3
	v_add_co_u32 v70, vcc_lo, v58, v14
	v_add_co_ci_u32_e64 v71, null, 0, v15, vcc_lo
	v_sub_nc_u32_e32 v21, v21, v115
	v_add_co_u32 v74, vcc_lo, 0x800, v70
	v_add_co_ci_u32_e64 v75, null, 0, v71, vcc_lo
	s_clause 0x3
	global_load_dwordx4 v[23:26], v[70:71], off slc
	global_load_dwordx4 v[32:35], v[70:71], off offset:512 slc
	global_load_dwordx4 v[80:83], v[70:71], off offset:1024 slc
	;; [unrolled: 1-line block ×3, first 2 shown]
	s_clause 0x3
	global_load_dwordx4 v[96:99], v[74:75], off slc
	global_load_dwordx4 v[100:103], v[74:75], off offset:512 slc
	global_load_dwordx4 v[70:73], v[74:75], off offset:1024 slc
	;; [unrolled: 1-line block ×3, first 2 shown]
	v_add_co_u32 v78, vcc_lo, v58, v12
	v_add_co_ci_u32_e64 v79, null, 0, v13, vcc_lo
	v_add_co_u32 v14, vcc_lo, v14, v42
	v_add_co_ci_u32_e64 v15, null, 0, v15, vcc_lo
	;; [unrolled: 2-line block ×3, first 2 shown]
	v_cmp_gt_i32_e32 vcc_lo, 1, v21
	v_add_co_u32 v88, s16, 0x800, v78
	v_add_co_ci_u32_e64 v89, null, 0, v79, s16
	s_or_b32 s22, vcc_lo, s22
	s_waitcnt vmcnt(7)
	global_store_dwordx4 v[78:79], v[23:26], off glc slc
	s_waitcnt vmcnt(6)
	global_store_dwordx4 v[78:79], v[32:35], off offset:512 glc slc
	s_waitcnt vmcnt(5)
	global_store_dwordx4 v[78:79], v[80:83], off offset:1024 glc slc
	;; [unrolled: 2-line block ×3, first 2 shown]
	s_waitcnt vmcnt(3)
	global_store_dwordx4 v[88:89], v[96:99], off glc slc
	s_waitcnt vmcnt(2)
	global_store_dwordx4 v[88:89], v[100:103], off offset:512 glc slc
	s_waitcnt vmcnt(1)
	global_store_dwordx4 v[88:89], v[70:73], off offset:1024 glc slc
	;; [unrolled: 2-line block ×3, first 2 shown]
	s_andn2_b32 exec_lo, exec_lo, s22
	s_cbranch_execnz .LBB6_1078
; %bb.1079:                             ;   in Loop: Header=BB6_1001 Depth=2
	s_or_b32 exec_lo, exec_lo, s22
.LBB6_1080:                             ;   in Loop: Header=BB6_1001 Depth=2
	s_or_b32 exec_lo, exec_lo, s17
	v_lshlrev_b32_e32 v15, 12, v22
	v_mov_b32_e32 v12, 0
	s_mov_b32 s16, 0
	s_mov_b32 s22, exec_lo
                                        ; implicit-def: $vgpr13
                                        ; implicit-def: $vgpr14
	v_cmpx_ne_u32_e64 v20, v15
	s_cbranch_execz .LBB6_1086
; %bb.1081:                             ;   in Loop: Header=BB6_1001 Depth=2
	v_lshlrev_b32_e32 v1, 5, v21
	v_sub_nc_u32_e32 v5, v20, v15
	s_mov_b32 s23, exec_lo
	v_sub_nc_u32_e32 v1, v47, v1
	v_ashrrev_i32_e32 v12, 31, v5
	v_ashrrev_i32_e32 v4, 31, v1
	v_lshrrev_b32_e32 v12, 23, v12
	v_lshrrev_b32_e32 v4, 27, v4
	v_add_nc_u32_e32 v21, v5, v12
	v_add_nc_u32_e32 v4, v1, v4
	v_and_b32_e32 v12, 0xfffffe00, v21
	v_ashrrev_i32_e32 v21, 9, v21
	v_and_b32_e32 v13, 0xffffffe0, v4
	v_sub_nc_u32_e32 v14, v1, v13
	v_sub_nc_u32_e32 v13, v5, v12
	v_ashrrev_i32_e32 v1, 5, v4
	v_lshlrev_b32_e32 v4, 4, v14
	v_cmp_lt_i32_e32 vcc_lo, 15, v13
	v_lshl_add_u32 v23, v1, 9, v4
	v_add_co_ci_u32_e64 v4, null, 0, v21, vcc_lo
	v_sub_nc_u32_e32 v22, v5, v23
	v_sub_nc_u32_e32 v21, v4, v1
	v_cmpx_lt_i32_e32 15, v22
	s_cbranch_execz .LBB6_1085
; %bb.1082:                             ;   in Loop: Header=BB6_1001 Depth=2
	v_add_nc_u32_e32 v23, v23, v15
	s_mov_b32 s24, 0
	v_ashrrev_i32_e32 v24, 31, v23
	.p2align	6
.LBB6_1083:                             ;   Parent Loop BB6_47 Depth=1
                                        ;     Parent Loop BB6_1001 Depth=2
                                        ; =>    This Inner Loop Header: Depth=3
	v_add_co_u32 v25, s16, v8, v23
	v_add_co_ci_u32_e64 v26, null, v9, v24, s16
	v_sub_nc_u32_e32 v22, v22, v43
	v_sub_nc_u32_e32 v21, v21, v115
	global_load_dwordx4 v[32:35], v[25:26], off slc
	v_add_co_u32 v25, s16, v10, v23
	v_add_co_ci_u32_e64 v26, null, v11, v24, s16
	v_cmp_gt_i32_e64 s16, 16, v22
	v_add_co_u32 v23, s17, v23, v43
	v_add_co_ci_u32_e64 v24, null, 0, v24, s17
	s_or_b32 s24, s16, s24
	s_waitcnt vmcnt(0)
	global_store_dwordx4 v[25:26], v[32:35], off glc slc
	s_andn2_b32 exec_lo, exec_lo, s24
	s_cbranch_execnz .LBB6_1083
; %bb.1084:                             ;   in Loop: Header=BB6_1001 Depth=2
	s_or_b32 exec_lo, exec_lo, s24
.LBB6_1085:                             ;   in Loop: Header=BB6_1001 Depth=2
	s_or_b32 exec_lo, exec_lo, s23
	v_and_b32_e32 v1, 15, v20
	v_cmp_lt_i32_e64 s16, 0, v21
	v_sub_nc_u32_e32 v4, v13, v1
	v_cndmask_b32_e64 v5, 0, v115, s16
	v_cndmask_b32_e32 v13, v13, v1, vcc_lo
	v_cndmask_b32_e32 v1, 0, v4, vcc_lo
	v_sub_nc_u32_e32 v4, v5, v21
	v_cmp_ne_u32_e32 vcc_lo, 0, v13
	v_add3_u32 v12, v12, v15, v1
	v_lshl_add_u32 v14, v4, 5, v14
	s_and_b32 s16, vcc_lo, exec_lo
.LBB6_1086:                             ;   in Loop: Header=BB6_1001 Depth=2
	s_or_b32 exec_lo, exec_lo, s22
	s_and_saveexec_b32 s17, s16
	s_cbranch_execz .LBB6_1095
.LBB6_1087:                             ;   in Loop: Header=BB6_1001 Depth=2
	v_ashrrev_i32_e32 v1, 31, v14
	v_ashrrev_i32_e32 v4, 31, v13
	s_mov_b32 s16, exec_lo
	v_lshrrev_b32_e32 v1, 27, v1
	v_lshrrev_b32_e32 v4, 22, v4
	v_add_nc_u32_e32 v23, v14, v1
	v_add_nc_u32_e32 v1, v13, v4
	v_ashrrev_i32_e32 v15, 5, v23
	v_ashrrev_i32_e32 v22, 10, v1
	v_sub_nc_u32_e32 v21, v22, v15
	v_cmpx_lt_i32_e32 0, v21
	s_cbranch_execz .LBB6_1091
; %bb.1088:                             ;   in Loop: Header=BB6_1001 Depth=2
	v_and_b32_e32 v1, 0xffffffe0, v23
	v_lshlrev_b32_e32 v4, 10, v15
	s_mov_b32 s22, 0
	v_sub_nc_u32_e32 v1, v14, v1
	v_add3_u32 v23, v12, v1, v4
	v_ashrrev_i32_e32 v24, 31, v23
.LBB6_1089:                             ;   Parent Loop BB6_47 Depth=1
                                        ;     Parent Loop BB6_1001 Depth=2
                                        ; =>    This Inner Loop Header: Depth=3
	v_add_co_u32 v25, vcc_lo, v23, v8
	v_add_co_ci_u32_e64 v26, null, v24, v9, vcc_lo
	v_sub_nc_u32_e32 v21, v21, v115
	s_clause 0x1f
	flat_load_ubyte v1, v[25:26] slc
	flat_load_ubyte v4, v[25:26] offset:32 slc
	flat_load_ubyte v5, v[25:26] offset:64 slc
	;; [unrolled: 1-line block ×31, first 2 shown]
	v_add_co_u32 v25, vcc_lo, v23, v10
	v_add_co_ci_u32_e64 v26, null, v24, v11, vcc_lo
	v_add_co_u32 v8, vcc_lo, v8, v44
	v_add_co_ci_u32_e64 v9, null, 0, v9, vcc_lo
	;; [unrolled: 2-line block ×3, first 2 shown]
	v_cmp_gt_i32_e32 vcc_lo, 1, v21
	s_waitcnt vmcnt(31) lgkmcnt(31)
	flat_store_byte v[25:26], v1 glc slc
	s_waitcnt vmcnt(30) lgkmcnt(31)
	flat_store_byte v[25:26], v4 offset:32 glc slc
	s_waitcnt vmcnt(29) lgkmcnt(31)
	flat_store_byte v[25:26], v5 offset:64 glc slc
	;; [unrolled: 2-line block ×31, first 2 shown]
	s_or_b32 s22, vcc_lo, s22
	s_andn2_b32 exec_lo, exec_lo, s22
	s_cbranch_execnz .LBB6_1089
; %bb.1090:                             ;   in Loop: Header=BB6_1001 Depth=2
	s_or_b32 exec_lo, exec_lo, s22
.LBB6_1091:                             ;   in Loop: Header=BB6_1001 Depth=2
	s_or_b32 exec_lo, exec_lo, s16
	v_lshlrev_b32_e32 v8, 10, v22
	v_cmp_ne_u32_e32 vcc_lo, v13, v8
	s_and_b32 exec_lo, exec_lo, vcc_lo
	s_cbranch_execz .LBB6_1095
; %bb.1092:                             ;   in Loop: Header=BB6_1001 Depth=2
	v_lshlrev_b32_e32 v1, 5, v15
	v_lshlrev_b32_e32 v4, 5, v21
	v_sub_nc_u32_e32 v1, v14, v1
	v_sub_nc_u32_e32 v1, v1, v4
	v_add_nc_u32_e32 v11, v8, v1
	v_sub_nc_u32_e32 v10, v13, v11
	v_cmp_lt_i32_e32 vcc_lo, 0, v10
	s_and_b32 exec_lo, exec_lo, vcc_lo
	s_cbranch_execz .LBB6_1095
; %bb.1093:                             ;   in Loop: Header=BB6_1001 Depth=2
	s_trap 2
	ds_read_b64 v[8:9], v0
	v_add_nc_u32_e32 v11, v11, v12
	s_mov_b32 s22, 0
	v_ashrrev_i32_e32 v12, 31, v11
	.p2align	6
.LBB6_1094:                             ;   Parent Loop BB6_47 Depth=1
                                        ;     Parent Loop BB6_1001 Depth=2
                                        ; =>    This Inner Loop Header: Depth=3
	s_waitcnt lgkmcnt(0)
	v_add_co_u32 v13, vcc_lo, v8, v11
	v_add_co_ci_u32_e64 v14, null, v9, v12, vcc_lo
	v_sub_nc_u32_e32 v10, v10, v118
	v_add_co_u32 v11, s16, v11, v118
	flat_load_ubyte v1, v[13:14] slc
	v_add_co_ci_u32_e64 v12, null, 0, v12, s16
	v_cmp_gt_i32_e32 vcc_lo, 1, v10
	s_or_b32 s22, vcc_lo, s22
	s_waitcnt vmcnt(0) lgkmcnt(0)
	flat_store_byte v[13:14], v1 glc slc
	s_andn2_b32 exec_lo, exec_lo, s22
	s_cbranch_execnz .LBB6_1094
.LBB6_1095:                             ;   in Loop: Header=BB6_1001 Depth=2
	s_or_b32 exec_lo, exec_lo, s17
	v_cmp_lt_i32_e64 s16, 0, v20
	s_and_saveexec_b32 s17, s6
	s_cbranch_execz .LBB6_1072
.LBB6_1096:                             ;   in Loop: Header=BB6_1001 Depth=2
	s_and_saveexec_b32 s22, s46
	s_xor_b32 s22, exec_lo, s22
	s_cbranch_execz .LBB6_1111
; %bb.1097:                             ;   in Loop: Header=BB6_1001 Depth=2
	s_and_saveexec_b32 s23, s11
	s_cbranch_execz .LBB6_1110
; %bb.1098:                             ;   in Loop: Header=BB6_1001 Depth=2
	s_mov_b32 s25, exec_lo
	s_mov_b32 s24, exec_lo
	v_mbcnt_lo_u32_b32 v1, s25, 0
	s_waitcnt vmcnt(0) lgkmcnt(0)
	s_waitcnt_vscnt null, 0x0
	buffer_gl1_inv
	buffer_gl0_inv
	v_cmpx_eq_u32_e32 0, v1
	s_cbranch_execz .LBB6_1100
; %bb.1099:                             ;   in Loop: Header=BB6_1001 Depth=2
	s_bcnt1_i32_b32 s25, s25
	v_mov_b32_e32 v9, v2
	v_mov_b32_e32 v8, s25
	ds_add_u64 v0, v[8:9]
	s_trap 2
.LBB6_1100:                             ;   in Loop: Header=BB6_1001 Depth=2
	s_or_b32 exec_lo, exec_lo, s24
	s_trap 2
	ds_read_b64 v[8:9], v0
	s_waitcnt lgkmcnt(0)
	buffer_gl0_inv
	v_add_co_u32 v50, vcc_lo, v50, v115
	v_add_co_ci_u32_e64 v51, null, 0, v51, vcc_lo
	s_mov_b32 s24, exec_lo
	v_cmpx_lt_u64_e64 v[8:9], v[50:51]
	s_cbranch_execz .LBB6_1109
; %bb.1101:                             ;   in Loop: Header=BB6_1001 Depth=2
	s_mov_b32 s25, 0
	s_mov_b32 s28, 0
                                        ; implicit-def: $sgpr26
                                        ; implicit-def: $sgpr27
	s_inst_prefetch 0x1
	s_branch .LBB6_1103
	.p2align	6
.LBB6_1102:                             ;   in Loop: Header=BB6_1103 Depth=3
	s_or_b32 exec_lo, exec_lo, s76
	s_and_b32 s41, exec_lo, s77
	s_or_b32 s25, s41, s25
	s_andn2_b32 s26, s26, exec_lo
	s_and_b32 s41, s27, exec_lo
	s_or_b32 s26, s26, s41
	s_andn2_b32 exec_lo, exec_lo, s25
	s_cbranch_execz .LBB6_1107
.LBB6_1103:                             ;   Parent Loop BB6_47 Depth=1
                                        ;     Parent Loop BB6_1001 Depth=2
                                        ; =>    This Inner Loop Header: Depth=3
	s_add_i32 s28, s28, 1
	s_cmpk_lg_i32 s28, 0x2710
	s_cselect_b32 s41, -1, 0
	s_and_b32 vcc_lo, exec_lo, s41
	s_cbranch_vccz .LBB6_1105
; %bb.1104:                             ;   in Loop: Header=BB6_1103 Depth=3
	s_mov_b32 s77, -1
	s_or_b32 s27, s27, exec_lo
	s_and_saveexec_b32 s76, s41
	s_cbranch_execz .LBB6_1102
	s_branch .LBB6_1106
	.p2align	6
.LBB6_1105:                             ;   in Loop: Header=BB6_1103 Depth=3
	s_trap 2
	ds_read_b64 v[8:9], v0
	s_andn2_b32 s41, s41, exec_lo
	s_mov_b32 s28, 0
	s_waitcnt lgkmcnt(0)
	flat_load_dword v1, v[8:9] glc dlc
	s_waitcnt vmcnt(0) lgkmcnt(0)
	buffer_gl1_inv
	buffer_gl0_inv
	v_cmp_eq_u32_e32 vcc_lo, 0, v1
	s_and_b32 s76, vcc_lo, exec_lo
	s_or_b32 s41, s41, s76
	s_mov_b32 s77, -1
	s_or_b32 s27, s27, exec_lo
	s_and_saveexec_b32 s76, s41
	s_cbranch_execz .LBB6_1102
.LBB6_1106:                             ;   in Loop: Header=BB6_1103 Depth=3
	s_sleep 1
	s_trap 2
	ds_read_b64 v[8:9], v0
	s_waitcnt lgkmcnt(0)
	buffer_gl0_inv
	s_andn2_b32 s27, s27, exec_lo
	v_cmp_ge_u64_e32 vcc_lo, v[8:9], v[50:51]
	s_orn2_b32 s77, vcc_lo, exec_lo
	s_branch .LBB6_1102
.LBB6_1107:                             ;   in Loop: Header=BB6_1001 Depth=2
	s_inst_prefetch 0x2
	s_or_b32 exec_lo, exec_lo, s25
	s_and_saveexec_b32 s25, s26
	s_xor_b32 s25, exec_lo, s25
	s_cbranch_execz .LBB6_1109
; %bb.1108:                             ;   in Loop: Header=BB6_1001 Depth=2
	ds_write_b32 v0, v119
	s_trap 2
.LBB6_1109:                             ;   in Loop: Header=BB6_1001 Depth=2
	s_or_b32 exec_lo, exec_lo, s24
	;;#ASMSTART
	s_wakeup
	;;#ASMEND
.LBB6_1110:                             ;   in Loop: Header=BB6_1001 Depth=2
	s_or_b32 exec_lo, exec_lo, s23
.LBB6_1111:                             ;   in Loop: Header=BB6_1001 Depth=2
	s_andn2_saveexec_b32 s22, s22
	s_cbranch_execz .LBB6_1113
; %bb.1112:                             ;   in Loop: Header=BB6_1001 Depth=2
	s_waitcnt vmcnt(0) lgkmcnt(0)
	s_waitcnt_vscnt null, 0x0
	buffer_gl1_inv
	buffer_gl0_inv
	s_barrier
.LBB6_1113:                             ;   in Loop: Header=BB6_1001 Depth=2
	s_or_b32 exec_lo, exec_lo, s22
	s_or_b32 exec_lo, exec_lo, s17
	s_and_saveexec_b32 s17, s15
	s_xor_b32 s17, exec_lo, s17
	s_cbranch_execnz .LBB6_1073
.LBB6_1114:                             ;   in Loop: Header=BB6_1001 Depth=2
	s_andn2_saveexec_b32 s16, s17
	s_cbranch_execz .LBB6_1133
.LBB6_1115:                             ;   in Loop: Header=BB6_1001 Depth=2
	s_and_saveexec_b32 s17, s46
	s_xor_b32 s17, exec_lo, s17
	s_cbranch_execz .LBB6_1130
; %bb.1116:                             ;   in Loop: Header=BB6_1001 Depth=2
	s_and_saveexec_b32 s22, s11
	s_cbranch_execz .LBB6_1129
; %bb.1117:                             ;   in Loop: Header=BB6_1001 Depth=2
	s_mov_b32 s24, exec_lo
	s_mov_b32 s23, exec_lo
	v_mbcnt_lo_u32_b32 v1, s24, 0
	;;#ASMSTART
	s_waitcnt lgkmcnt(0) vmcnt(0)
	;;#ASMEND
	v_cmpx_eq_u32_e32 0, v1
	s_cbranch_execz .LBB6_1119
; %bb.1118:                             ;   in Loop: Header=BB6_1001 Depth=2
	s_bcnt1_i32_b32 s24, s24
	v_mov_b32_e32 v9, v2
	v_mov_b32_e32 v8, s24
	s_waitcnt vmcnt(0) lgkmcnt(0)
	s_waitcnt_vscnt null, 0x0
	ds_add_u64 v0, v[8:9]
	s_trap 2
.LBB6_1119:                             ;   in Loop: Header=BB6_1001 Depth=2
	s_or_b32 exec_lo, exec_lo, s23
	s_trap 2
	ds_read_b64 v[8:9], v0
	s_waitcnt vmcnt(0) lgkmcnt(0)
	buffer_gl0_inv
	v_add_co_u32 v50, vcc_lo, v50, v115
	v_add_co_ci_u32_e64 v51, null, 0, v51, vcc_lo
	s_mov_b32 s23, exec_lo
	v_cmpx_lt_u64_e64 v[8:9], v[50:51]
	s_cbranch_execz .LBB6_1128
; %bb.1120:                             ;   in Loop: Header=BB6_1001 Depth=2
	s_mov_b32 s24, 0
	s_mov_b32 s27, 0
                                        ; implicit-def: $sgpr25
                                        ; implicit-def: $sgpr26
	s_inst_prefetch 0x1
	s_branch .LBB6_1122
	.p2align	6
.LBB6_1121:                             ;   in Loop: Header=BB6_1122 Depth=3
	s_or_b32 exec_lo, exec_lo, s41
	s_and_b32 s28, exec_lo, s76
	s_or_b32 s24, s28, s24
	s_andn2_b32 s25, s25, exec_lo
	s_and_b32 s28, s26, exec_lo
	s_or_b32 s25, s25, s28
	s_andn2_b32 exec_lo, exec_lo, s24
	s_cbranch_execz .LBB6_1126
.LBB6_1122:                             ;   Parent Loop BB6_47 Depth=1
                                        ;     Parent Loop BB6_1001 Depth=2
                                        ; =>    This Inner Loop Header: Depth=3
	s_add_i32 s27, s27, 1
	s_cmpk_lg_i32 s27, 0x2710
	s_cselect_b32 s28, -1, 0
	s_and_b32 vcc_lo, exec_lo, s28
	s_cbranch_vccz .LBB6_1124
; %bb.1123:                             ;   in Loop: Header=BB6_1122 Depth=3
	s_mov_b32 s76, -1
	s_or_b32 s26, s26, exec_lo
	s_and_saveexec_b32 s41, s28
	s_cbranch_execz .LBB6_1121
	s_branch .LBB6_1125
	.p2align	6
.LBB6_1124:                             ;   in Loop: Header=BB6_1122 Depth=3
	s_trap 2
	ds_read_b64 v[8:9], v0
	s_andn2_b32 s28, s28, exec_lo
	s_mov_b32 s27, 0
	s_waitcnt lgkmcnt(0)
	s_waitcnt_vscnt null, 0x0
	flat_load_dword v1, v[8:9] glc dlc
	s_waitcnt vmcnt(0) lgkmcnt(0)
	buffer_gl1_inv
	buffer_gl0_inv
	v_cmp_eq_u32_e32 vcc_lo, 0, v1
	s_and_b32 s41, vcc_lo, exec_lo
	s_or_b32 s28, s28, s41
	s_mov_b32 s76, -1
	s_or_b32 s26, s26, exec_lo
	s_and_saveexec_b32 s41, s28
	s_cbranch_execz .LBB6_1121
.LBB6_1125:                             ;   in Loop: Header=BB6_1122 Depth=3
	s_sleep 1
	s_trap 2
	ds_read_b64 v[8:9], v0
	s_waitcnt lgkmcnt(0)
	buffer_gl0_inv
	s_andn2_b32 s26, s26, exec_lo
	v_cmp_ge_u64_e32 vcc_lo, v[8:9], v[50:51]
	s_orn2_b32 s76, vcc_lo, exec_lo
	s_branch .LBB6_1121
.LBB6_1126:                             ;   in Loop: Header=BB6_1001 Depth=2
	s_inst_prefetch 0x2
	s_or_b32 exec_lo, exec_lo, s24
	s_and_saveexec_b32 s24, s25
	s_xor_b32 s24, exec_lo, s24
	s_cbranch_execz .LBB6_1128
; %bb.1127:                             ;   in Loop: Header=BB6_1001 Depth=2
	ds_write_b32 v0, v119
	s_trap 2
.LBB6_1128:                             ;   in Loop: Header=BB6_1001 Depth=2
	s_or_b32 exec_lo, exec_lo, s23
	;;#ASMSTART
	s_wakeup
	;;#ASMEND
.LBB6_1129:                             ;   in Loop: Header=BB6_1001 Depth=2
	s_or_b32 exec_lo, exec_lo, s22
.LBB6_1130:                             ;   in Loop: Header=BB6_1001 Depth=2
	s_andn2_saveexec_b32 s17, s17
	s_cbranch_execz .LBB6_1132
; %bb.1131:                             ;   in Loop: Header=BB6_1001 Depth=2
	;;#ASMSTART
	s_waitcnt lgkmcnt(0) vmcnt(0)
	;;#ASMEND
	s_barrier
.LBB6_1132:                             ;   in Loop: Header=BB6_1001 Depth=2
	s_or_b32 exec_lo, exec_lo, s17
.LBB6_1133:                             ;   in Loop: Header=BB6_1001 Depth=2
	s_or_b32 exec_lo, exec_lo, s16
	v_and_b32_e32 v1, 32, v112
	s_mov_b32 s16, exec_lo
	v_cmpx_ne_u32_e32 0, v1
	s_cbranch_execz .LBB6_1000
; %bb.1134:                             ;   in Loop: Header=BB6_1001 Depth=2
	v_add_co_u32 v68, vcc_lo, v68, 2
	v_add_co_ci_u32_e64 v69, null, 0, v69, vcc_lo
	s_waitcnt vmcnt(0) lgkmcnt(0)
	s_waitcnt_vscnt null, 0x0
	flat_store_dwordx2 v[36:37], v[68:69]
	s_branch .LBB6_1000
.LBB6_1135:                             ;   in Loop: Header=BB6_47 Depth=1
	s_or_b32 exec_lo, exec_lo, s19
.LBB6_1136:                             ;   in Loop: Header=BB6_47 Depth=1
	s_or_b32 exec_lo, exec_lo, s18
	v_cmp_gt_i32_e32 vcc_lo, 2, v10
	s_mov_b32 s17, exec_lo
	s_clause 0x7
	buffer_load_dword v22, off, s[0:3], s33 offset:236
	buffer_load_dword v23, off, s[0:3], s33 offset:240
	;; [unrolled: 1-line block ×8, first 2 shown]
	s_and_b32 s16, s17, vcc_lo
	s_mov_b32 exec_lo, s16
	s_cbranch_execz .LBB6_46
; %bb.1137:                             ;   in Loop: Header=BB6_47 Depth=1
	v_cmp_eq_u32_e64 s19, 0, v10
	s_mov_b32 s18, 0
	s_branch .LBB6_1139
.LBB6_1138:                             ;   in Loop: Header=BB6_1139 Depth=2
	s_or_b32 exec_lo, exec_lo, s16
	v_add_nc_u32_e32 v17, v16, v17
	s_mov_b32 s19, 0
	s_andn2_b32 exec_lo, exec_lo, s18
	s_cbranch_execz .LBB6_45
.LBB6_1139:                             ;   Parent Loop BB6_47 Depth=1
                                        ; =>  This Loop Header: Depth=2
                                        ;       Child Loop BB6_1145 Depth 3
                                        ;       Child Loop BB6_1169 Depth 3
	;; [unrolled: 1-line block ×3, first 2 shown]
	v_and_b32_e32 v1, 4, v112
	s_mov_b32 s20, exec_lo
	v_cmpx_ne_u32_e32 0, v1
	s_cbranch_execz .LBB6_1161
; %bb.1140:                             ;   in Loop: Header=BB6_1139 Depth=2
	v_add_co_u32 v8, vcc_lo, v68, 2
	v_add_co_ci_u32_e64 v9, null, 0, v69, vcc_lo
	s_mov_b32 s21, exec_lo
	s_waitcnt vmcnt(0) lgkmcnt(1)
	v_cmpx_lt_u64_e64 v[52:53], v[8:9]
	s_cbranch_execz .LBB6_1152
; %bb.1141:                             ;   in Loop: Header=BB6_1139 Depth=2
	v_and_b32_e32 v1, 64, v112
	s_mov_b32 s22, 0
	s_mov_b32 s26, 0
                                        ; implicit-def: $sgpr23
                                        ; implicit-def: $sgpr24
                                        ; implicit-def: $sgpr25
	v_cmp_eq_u32_e32 vcc_lo, 0, v1
	s_branch .LBB6_1145
.LBB6_1142:                             ;   in Loop: Header=BB6_1145 Depth=3
	s_waitcnt vmcnt(0) lgkmcnt(0)
	v_cmp_ge_u64_e64 s16, v[52:53], v[8:9]
	s_or_b32 s41, s41, exec_lo
	s_orn2_b32 s28, s16, exec_lo
.LBB6_1143:                             ;   in Loop: Header=BB6_1145 Depth=3
	s_or_b32 exec_lo, exec_lo, s77
	s_andn2_b32 s16, s25, exec_lo
	s_and_b32 s25, s41, exec_lo
	s_andn2_b32 s24, s24, exec_lo
	s_and_b32 s28, s28, exec_lo
	s_or_b32 s25, s16, s25
	s_or_b32 s24, s24, s28
.LBB6_1144:                             ;   in Loop: Header=BB6_1145 Depth=3
	s_or_b32 exec_lo, exec_lo, s27
	s_and_b32 s16, exec_lo, s24
	s_or_b32 s22, s16, s22
	s_andn2_b32 s16, s23, exec_lo
	s_and_b32 s23, s25, exec_lo
	s_or_b32 s23, s16, s23
	s_andn2_b32 exec_lo, exec_lo, s22
	s_cbranch_execz .LBB6_1149
.LBB6_1145:                             ;   Parent Loop BB6_47 Depth=1
                                        ;     Parent Loop BB6_1139 Depth=2
                                        ; =>    This Inner Loop Header: Depth=3
	s_sleep 1
	s_waitcnt vmcnt(0) lgkmcnt(0)
	flat_load_dwordx2 v[52:53], v[36:37] glc dlc
	s_or_b32 s25, s25, exec_lo
	s_or_b32 s24, s24, exec_lo
                                        ; implicit-def: $vgpr10
	s_and_saveexec_b32 s27, vcc_lo
	s_cbranch_execz .LBB6_1144
; %bb.1146:                             ;   in Loop: Header=BB6_1145 Depth=3
	s_cmpk_lt_i32 s26, 0x270f
	s_mov_b32 s28, -1
	s_cselect_b32 s76, -1, 0
	s_cmpk_gt_i32 s26, 0x270e
	s_cbranch_scc0 .LBB6_1148
; %bb.1147:                             ;   in Loop: Header=BB6_1145 Depth=3
	s_trap 2
	ds_read_b64 v[10:11], v0
	s_andn2_b32 s26, s76, exec_lo
	s_mov_b32 s41, 0
	s_waitcnt vmcnt(0) lgkmcnt(0)
	s_waitcnt_vscnt null, 0x0
	flat_load_dword v10, v[10:11] glc dlc
	s_waitcnt vmcnt(0) lgkmcnt(0)
	buffer_gl1_inv
	buffer_gl0_inv
	v_cmp_eq_u32_e64 s16, 0, v10
	s_and_b32 s16, s16, exec_lo
	s_or_b32 s76, s26, s16
	s_mov_b32 s26, 0
	s_and_saveexec_b32 s77, s76
	s_cbranch_execz .LBB6_1143
	s_branch .LBB6_1142
.LBB6_1148:                             ;   in Loop: Header=BB6_1145 Depth=3
	s_add_i32 s26, s26, 1
	s_mov_b32 s41, -1
                                        ; implicit-def: $vgpr10
	s_and_saveexec_b32 s77, s76
	s_cbranch_execz .LBB6_1143
	s_branch .LBB6_1142
.LBB6_1149:                             ;   in Loop: Header=BB6_1139 Depth=2
	s_or_b32 exec_lo, exec_lo, s22
	s_xor_b32 s16, s23, -1
	s_and_saveexec_b32 s22, s16
	s_xor_b32 s16, exec_lo, s22
	s_cbranch_execz .LBB6_1151
; %bb.1150:                             ;   in Loop: Header=BB6_1139 Depth=2
	v_or_b32_e32 v112, 64, v112
	s_waitcnt vmcnt(0) lgkmcnt(0)
	s_waitcnt_vscnt null, 0x0
	ds_write_b32 v0, v10
	s_trap 2
.LBB6_1151:                             ;   in Loop: Header=BB6_1139 Depth=2
	s_or_b32 exec_lo, exec_lo, s16
.LBB6_1152:                             ;   in Loop: Header=BB6_1139 Depth=2
	s_or_b32 exec_lo, exec_lo, s21
	v_and_b32_e32 v1, 0x100, v112
	v_and_b32_e32 v14, 7, v68
	s_mov_b32 s16, -1
	s_mov_b32 s21, exec_lo
	;;#ASMSTART
	s_wakeup
	;;#ASMEND
                                        ; implicit-def: $vgpr10_vgpr11
	v_cmpx_ne_u32_e32 0, v1
	s_cbranch_execz .LBB6_1156
; %bb.1153:                             ;   in Loop: Header=BB6_1139 Depth=2
	v_mad_u64_u32 v[12:13], null, v14, 24, v[6:7]
	s_mov_b32 s22, exec_lo
                                        ; implicit-def: $vgpr10_vgpr11
	flat_load_dword v1, v[12:13]
	s_waitcnt vmcnt(0) lgkmcnt(0)
	v_cmp_ne_u32_e32 vcc_lo, 1, v1
	v_cmpx_eq_u32_e32 1, v1
	s_cbranch_execz .LBB6_1155
; %bb.1154:                             ;   in Loop: Header=BB6_1139 Depth=2
	flat_load_dword v10, v[12:13] offset:4 glc dlc
	s_waitcnt vmcnt(0) lgkmcnt(0)
	v_ashrrev_i32_e32 v11, 31, v10
.LBB6_1155:                             ;   in Loop: Header=BB6_1139 Depth=2
	s_or_b32 exec_lo, exec_lo, s22
	s_orn2_b32 s16, vcc_lo, exec_lo
.LBB6_1156:                             ;   in Loop: Header=BB6_1139 Depth=2
	s_or_b32 exec_lo, exec_lo, s21
	s_and_saveexec_b32 s21, s16
; %bb.1157:                             ;   in Loop: Header=BB6_1139 Depth=2
	v_mad_i64_i32 v[10:11], null, v14, v113, 0
; %bb.1158:                             ;   in Loop: Header=BB6_1139 Depth=2
	s_or_b32 exec_lo, exec_lo, s21
	v_add_co_u32 v10, vcc_lo, v38, v10
	v_and_b32_e32 v1, 0x2000, v112
	v_add_co_ci_u32_e64 v11, null, v39, v11, vcc_lo
	s_mov_b32 s16, exec_lo
	ds_write_b64 v0, v[10:11] offset:720
	v_cmpx_ne_u32_e32 0, v1
	s_cbranch_execz .LBB6_1160
; %bb.1159:                             ;   in Loop: Header=BB6_1139 Depth=2
	ds_read_b64 v[10:11], v0 offset:872
	s_waitcnt lgkmcnt(0)
	v_add_co_u32 v10, vcc_lo, v10, 1
	v_add_co_ci_u32_e64 v11, null, 0, v11, vcc_lo
	ds_write_b64 v0, v[10:11] offset:872
.LBB6_1160:                             ;   in Loop: Header=BB6_1139 Depth=2
	s_or_b32 exec_lo, exec_lo, s16
	v_mov_b32_e32 v69, v9
	v_mov_b32_e32 v68, v8
.LBB6_1161:                             ;   in Loop: Header=BB6_1139 Depth=2
	s_or_b32 exec_lo, exec_lo, s20
	s_xor_b32 s16, s19, -1
	s_and_b32 s16, exec_lo, s16
	s_or_b32 s18, s16, s18
	s_and_saveexec_b32 s16, s6
	s_cbranch_execz .LBB6_1180
; %bb.1162:                             ;   in Loop: Header=BB6_1139 Depth=2
	s_and_saveexec_b32 s19, s46
	s_xor_b32 s19, exec_lo, s19
	s_cbranch_execz .LBB6_1177
; %bb.1163:                             ;   in Loop: Header=BB6_1139 Depth=2
	s_and_saveexec_b32 s20, s11
	s_cbranch_execz .LBB6_1176
; %bb.1164:                             ;   in Loop: Header=BB6_1139 Depth=2
	s_mov_b32 s22, exec_lo
	s_mov_b32 s21, exec_lo
	v_mbcnt_lo_u32_b32 v1, s22, 0
	s_waitcnt vmcnt(0) lgkmcnt(0)
	s_waitcnt_vscnt null, 0x0
	buffer_gl1_inv
	buffer_gl0_inv
	v_cmpx_eq_u32_e32 0, v1
	s_cbranch_execz .LBB6_1166
; %bb.1165:                             ;   in Loop: Header=BB6_1139 Depth=2
	s_bcnt1_i32_b32 s22, s22
	v_mov_b32_e32 v9, v2
	v_mov_b32_e32 v8, s22
	ds_add_u64 v0, v[8:9]
	s_trap 2
.LBB6_1166:                             ;   in Loop: Header=BB6_1139 Depth=2
	s_or_b32 exec_lo, exec_lo, s21
	s_trap 2
	ds_read_b64 v[8:9], v0
	s_waitcnt lgkmcnt(0)
	buffer_gl0_inv
	v_add_co_u32 v50, vcc_lo, v50, v115
	v_add_co_ci_u32_e64 v51, null, 0, v51, vcc_lo
	s_mov_b32 s21, exec_lo
	v_cmpx_lt_u64_e64 v[8:9], v[50:51]
	s_cbranch_execz .LBB6_1175
; %bb.1167:                             ;   in Loop: Header=BB6_1139 Depth=2
	s_mov_b32 s22, 0
	s_mov_b32 s25, 0
                                        ; implicit-def: $sgpr23
                                        ; implicit-def: $sgpr24
	s_inst_prefetch 0x1
	s_branch .LBB6_1169
	.p2align	6
.LBB6_1168:                             ;   in Loop: Header=BB6_1169 Depth=3
	s_or_b32 exec_lo, exec_lo, s27
	s_and_b32 s26, exec_lo, s28
	s_or_b32 s22, s26, s22
	s_andn2_b32 s23, s23, exec_lo
	s_and_b32 s26, s24, exec_lo
	s_or_b32 s23, s23, s26
	s_andn2_b32 exec_lo, exec_lo, s22
	s_cbranch_execz .LBB6_1173
.LBB6_1169:                             ;   Parent Loop BB6_47 Depth=1
                                        ;     Parent Loop BB6_1139 Depth=2
                                        ; =>    This Inner Loop Header: Depth=3
	s_add_i32 s25, s25, 1
	s_cmpk_lg_i32 s25, 0x2710
	s_cselect_b32 s26, -1, 0
	s_and_b32 vcc_lo, exec_lo, s26
	s_cbranch_vccz .LBB6_1171
; %bb.1170:                             ;   in Loop: Header=BB6_1169 Depth=3
	s_mov_b32 s28, -1
	s_or_b32 s24, s24, exec_lo
	s_and_saveexec_b32 s27, s26
	s_cbranch_execz .LBB6_1168
	s_branch .LBB6_1172
	.p2align	6
.LBB6_1171:                             ;   in Loop: Header=BB6_1169 Depth=3
	s_trap 2
	ds_read_b64 v[8:9], v0
	s_andn2_b32 s26, s26, exec_lo
	s_mov_b32 s25, 0
	s_waitcnt lgkmcnt(0)
	flat_load_dword v1, v[8:9] glc dlc
	s_waitcnt vmcnt(0) lgkmcnt(0)
	buffer_gl1_inv
	buffer_gl0_inv
	v_cmp_eq_u32_e32 vcc_lo, 0, v1
	s_and_b32 s27, vcc_lo, exec_lo
	s_or_b32 s26, s26, s27
	s_mov_b32 s28, -1
	s_or_b32 s24, s24, exec_lo
	s_and_saveexec_b32 s27, s26
	s_cbranch_execz .LBB6_1168
.LBB6_1172:                             ;   in Loop: Header=BB6_1169 Depth=3
	s_sleep 1
	s_trap 2
	ds_read_b64 v[8:9], v0
	s_waitcnt lgkmcnt(0)
	buffer_gl0_inv
	s_andn2_b32 s24, s24, exec_lo
	v_cmp_ge_u64_e32 vcc_lo, v[8:9], v[50:51]
	s_orn2_b32 s28, vcc_lo, exec_lo
	s_branch .LBB6_1168
.LBB6_1173:                             ;   in Loop: Header=BB6_1139 Depth=2
	s_inst_prefetch 0x2
	s_or_b32 exec_lo, exec_lo, s22
	s_and_saveexec_b32 s22, s23
	s_xor_b32 s22, exec_lo, s22
	s_cbranch_execz .LBB6_1175
; %bb.1174:                             ;   in Loop: Header=BB6_1139 Depth=2
	ds_write_b32 v0, v119
	s_trap 2
.LBB6_1175:                             ;   in Loop: Header=BB6_1139 Depth=2
	s_or_b32 exec_lo, exec_lo, s21
	;;#ASMSTART
	s_wakeup
	;;#ASMEND
.LBB6_1176:                             ;   in Loop: Header=BB6_1139 Depth=2
	s_or_b32 exec_lo, exec_lo, s20
.LBB6_1177:                             ;   in Loop: Header=BB6_1139 Depth=2
	s_andn2_saveexec_b32 s19, s19
	s_cbranch_execz .LBB6_1179
; %bb.1178:                             ;   in Loop: Header=BB6_1139 Depth=2
	s_waitcnt vmcnt(0) lgkmcnt(0)
	s_waitcnt_vscnt null, 0x0
	buffer_gl1_inv
	buffer_gl0_inv
	s_barrier
.LBB6_1179:                             ;   in Loop: Header=BB6_1139 Depth=2
	s_or_b32 exec_lo, exec_lo, s19
.LBB6_1180:                             ;   in Loop: Header=BB6_1139 Depth=2
	s_or_b32 exec_lo, exec_lo, s16
	v_sub_nc_u32_e32 v1, v3, v17
	v_min_i32_e32 v16, v16, v1
	s_and_saveexec_b32 s16, s15
	s_xor_b32 s19, exec_lo, s16
	s_cbranch_execz .LBB6_1184
; %bb.1181:                             ;   in Loop: Header=BB6_1139 Depth=2
	s_trap 2
	ds_read_b32 v1, v0
	v_cmp_lt_i32_e32 vcc_lo, 0, v16
	s_waitcnt lgkmcnt(0)
	v_readfirstlane_b32 s16, v1
	v_and_b32_e32 v1, 16, v112
	s_cmp_eq_u32 s16, 0
	v_cmp_ne_u32_e64 s16, 0, v1
	s_cselect_b32 s20, -1, 0
	s_and_b32 s20, vcc_lo, s20
	s_and_b32 s20, s16, s20
	s_and_saveexec_b32 s16, s20
	s_cbranch_execz .LBB6_1183
; %bb.1182:                             ;   in Loop: Header=BB6_1139 Depth=2
	s_waitcnt vmcnt(0)
	s_waitcnt_vscnt null, 0x0
	buffer_gl1_inv
	buffer_gl0_inv
.LBB6_1183:                             ;   in Loop: Header=BB6_1139 Depth=2
	s_or_b32 exec_lo, exec_lo, s16
.LBB6_1184:                             ;   in Loop: Header=BB6_1139 Depth=2
	s_andn2_saveexec_b32 s16, s19
	s_cbranch_execz .LBB6_1203
; %bb.1185:                             ;   in Loop: Header=BB6_1139 Depth=2
	s_and_saveexec_b32 s19, s46
	s_xor_b32 s19, exec_lo, s19
	s_cbranch_execz .LBB6_1200
; %bb.1186:                             ;   in Loop: Header=BB6_1139 Depth=2
	s_and_saveexec_b32 s20, s11
	s_cbranch_execz .LBB6_1199
; %bb.1187:                             ;   in Loop: Header=BB6_1139 Depth=2
	s_mov_b32 s22, exec_lo
	s_mov_b32 s21, exec_lo
	v_mbcnt_lo_u32_b32 v1, s22, 0
	;;#ASMSTART
	s_waitcnt lgkmcnt(0) vmcnt(0)
	;;#ASMEND
	v_cmpx_eq_u32_e32 0, v1
	s_cbranch_execz .LBB6_1189
; %bb.1188:                             ;   in Loop: Header=BB6_1139 Depth=2
	s_bcnt1_i32_b32 s22, s22
	v_mov_b32_e32 v9, v2
	v_mov_b32_e32 v8, s22
	s_waitcnt vmcnt(0) lgkmcnt(0)
	s_waitcnt_vscnt null, 0x0
	ds_add_u64 v0, v[8:9]
	s_trap 2
.LBB6_1189:                             ;   in Loop: Header=BB6_1139 Depth=2
	s_or_b32 exec_lo, exec_lo, s21
	s_trap 2
	ds_read_b64 v[8:9], v0
	s_waitcnt vmcnt(0) lgkmcnt(0)
	buffer_gl0_inv
	v_add_co_u32 v50, vcc_lo, v50, v115
	v_add_co_ci_u32_e64 v51, null, 0, v51, vcc_lo
	s_mov_b32 s21, exec_lo
	v_cmpx_lt_u64_e64 v[8:9], v[50:51]
	s_cbranch_execz .LBB6_1198
; %bb.1190:                             ;   in Loop: Header=BB6_1139 Depth=2
	s_mov_b32 s22, 0
	s_mov_b32 s25, 0
                                        ; implicit-def: $sgpr23
                                        ; implicit-def: $sgpr24
	s_inst_prefetch 0x1
	s_branch .LBB6_1192
	.p2align	6
.LBB6_1191:                             ;   in Loop: Header=BB6_1192 Depth=3
	s_or_b32 exec_lo, exec_lo, s27
	s_and_b32 s26, exec_lo, s28
	s_or_b32 s22, s26, s22
	s_andn2_b32 s23, s23, exec_lo
	s_and_b32 s26, s24, exec_lo
	s_or_b32 s23, s23, s26
	s_andn2_b32 exec_lo, exec_lo, s22
	s_cbranch_execz .LBB6_1196
.LBB6_1192:                             ;   Parent Loop BB6_47 Depth=1
                                        ;     Parent Loop BB6_1139 Depth=2
                                        ; =>    This Inner Loop Header: Depth=3
	s_add_i32 s25, s25, 1
	s_cmpk_lg_i32 s25, 0x2710
	s_cselect_b32 s26, -1, 0
	s_and_b32 vcc_lo, exec_lo, s26
	s_cbranch_vccz .LBB6_1194
; %bb.1193:                             ;   in Loop: Header=BB6_1192 Depth=3
	s_mov_b32 s28, -1
	s_or_b32 s24, s24, exec_lo
	s_and_saveexec_b32 s27, s26
	s_cbranch_execz .LBB6_1191
	s_branch .LBB6_1195
	.p2align	6
.LBB6_1194:                             ;   in Loop: Header=BB6_1192 Depth=3
	s_trap 2
	ds_read_b64 v[8:9], v0
	s_andn2_b32 s26, s26, exec_lo
	s_mov_b32 s25, 0
	s_waitcnt lgkmcnt(0)
	s_waitcnt_vscnt null, 0x0
	flat_load_dword v1, v[8:9] glc dlc
	s_waitcnt vmcnt(0) lgkmcnt(0)
	buffer_gl1_inv
	buffer_gl0_inv
	v_cmp_eq_u32_e32 vcc_lo, 0, v1
	s_and_b32 s27, vcc_lo, exec_lo
	s_or_b32 s26, s26, s27
	s_mov_b32 s28, -1
	s_or_b32 s24, s24, exec_lo
	s_and_saveexec_b32 s27, s26
	s_cbranch_execz .LBB6_1191
.LBB6_1195:                             ;   in Loop: Header=BB6_1192 Depth=3
	s_sleep 1
	s_trap 2
	ds_read_b64 v[8:9], v0
	s_waitcnt lgkmcnt(0)
	buffer_gl0_inv
	s_andn2_b32 s24, s24, exec_lo
	v_cmp_ge_u64_e32 vcc_lo, v[8:9], v[50:51]
	s_orn2_b32 s28, vcc_lo, exec_lo
	s_branch .LBB6_1191
.LBB6_1196:                             ;   in Loop: Header=BB6_1139 Depth=2
	s_inst_prefetch 0x2
	s_or_b32 exec_lo, exec_lo, s22
	s_and_saveexec_b32 s22, s23
	s_xor_b32 s22, exec_lo, s22
	s_cbranch_execz .LBB6_1198
; %bb.1197:                             ;   in Loop: Header=BB6_1139 Depth=2
	ds_write_b32 v0, v119
	s_trap 2
.LBB6_1198:                             ;   in Loop: Header=BB6_1139 Depth=2
	s_or_b32 exec_lo, exec_lo, s21
	;;#ASMSTART
	s_wakeup
	;;#ASMEND
.LBB6_1199:                             ;   in Loop: Header=BB6_1139 Depth=2
	s_or_b32 exec_lo, exec_lo, s20
.LBB6_1200:                             ;   in Loop: Header=BB6_1139 Depth=2
	s_andn2_saveexec_b32 s19, s19
	s_cbranch_execz .LBB6_1202
; %bb.1201:                             ;   in Loop: Header=BB6_1139 Depth=2
	;;#ASMSTART
	s_waitcnt lgkmcnt(0) vmcnt(0)
	;;#ASMEND
	s_barrier
.LBB6_1202:                             ;   in Loop: Header=BB6_1139 Depth=2
	s_or_b32 exec_lo, exec_lo, s19
.LBB6_1203:                             ;   in Loop: Header=BB6_1139 Depth=2
	s_or_b32 exec_lo, exec_lo, s16
	v_and_b32_e32 v1, 32, v112
	s_mov_b32 s16, exec_lo
	v_cmpx_ne_u32_e32 0, v1
	s_cbranch_execz .LBB6_1138
; %bb.1204:                             ;   in Loop: Header=BB6_1139 Depth=2
	v_add_co_u32 v68, vcc_lo, v68, 2
	v_add_co_ci_u32_e64 v69, null, 0, v69, vcc_lo
	s_waitcnt vmcnt(0) lgkmcnt(0)
	s_waitcnt_vscnt null, 0x0
	flat_store_dwordx2 v[36:37], v[68:69]
	s_branch .LBB6_1138
.LBB6_1205:
	s_or_b32 exec_lo, exec_lo, s44
	s_clause 0x4
	buffer_load_dword v1, off, s[0:3], s33 offset:260
	buffer_load_dword v31, off, s[0:3], s33 offset:264
	;; [unrolled: 1-line block ×5, first 2 shown]
.LBB6_1206:
	s_or_b32 exec_lo, exec_lo, s43
	v_and_b32_e32 v0, 0x800, v112
	s_mov_b32 s5, exec_lo
	v_cmpx_eq_u32_e32 0, v0
	s_cbranch_execz .LBB6_1239
; %bb.1207:
	v_and_b32_e32 v0, 48, v112
	s_mov_b32 s4, exec_lo
	v_cmpx_ne_u32_e32 0, v0
	s_cbranch_execz .LBB6_1209
; %bb.1208:
	s_waitcnt vmcnt(0)
	flat_store_dwordx2 v[24:25], v[68:69] offset:104
.LBB6_1209:
	s_or_b32 exec_lo, exec_lo, s4
	v_and_b32_e32 v0, 0x88, v112
	s_mov_b32 s6, exec_lo
	v_cmpx_eq_u32_e32 0x88, v0
	s_cbranch_execz .LBB6_1219
; %bb.1210:
	v_add_nc_u32_e32 v0, 6, v68
	s_mov_b32 s7, 0
	v_and_b32_e32 v0, 7, v0
	v_mad_u64_u32 v[2:3], null, v0, 24, v[6:7]
	v_and_b32_e32 v0, 64, v112
	v_cmp_eq_u32_e64 s4, 0, v0
	flat_load_dwordx2 v[4:5], v[2:3] offset:8 glc dlc
	s_waitcnt vmcnt(0) lgkmcnt(0)
	v_cmp_ne_u64_e32 vcc_lo, -1, v[4:5]
	s_and_b32 s4, vcc_lo, s4
	s_and_b32 exec_lo, exec_lo, s4
	s_cbranch_execz .LBB6_1219
; %bb.1211:
	s_mov_b32 s11, 0
                                        ; implicit-def: $sgpr4
                                        ; implicit-def: $sgpr10
	s_inst_prefetch 0x1
	s_branch .LBB6_1214
	.p2align	6
.LBB6_1212:                             ;   in Loop: Header=BB6_1214 Depth=1
	flat_load_dwordx2 v[4:5], v[2:3] offset:8 glc dlc
	s_waitcnt vmcnt(0)
	s_andn2_b32 s10, s10, exec_lo
	s_waitcnt lgkmcnt(0)
	v_cmp_eq_u64_e32 vcc_lo, -1, v[4:5]
	s_orn2_b32 s13, vcc_lo, exec_lo
.LBB6_1213:                             ;   in Loop: Header=BB6_1214 Depth=1
	s_or_b32 exec_lo, exec_lo, s14
	s_and_b32 s12, exec_lo, s13
	s_or_b32 s7, s12, s7
	s_andn2_b32 s4, s4, exec_lo
	s_and_b32 s12, s10, exec_lo
	s_or_b32 s4, s4, s12
	s_andn2_b32 exec_lo, exec_lo, s7
	s_cbranch_execz .LBB6_1217
.LBB6_1214:                             ; =>This Inner Loop Header: Depth=1
	s_cmpk_lt_i32 s11, 0x270f
	s_cselect_b32 s12, -1, 0
	s_and_b32 vcc_lo, exec_lo, s12
	s_cbranch_vccnz .LBB6_1216
; %bb.1215:                             ;   in Loop: Header=BB6_1214 Depth=1
	s_trap 2
	ds_read_b64 v[4:5], v0
	s_andn2_b32 s12, s12, exec_lo
	s_mov_b32 s11, 0
	s_waitcnt lgkmcnt(0)
	s_waitcnt_vscnt null, 0x0
	flat_load_dword v0, v[4:5] glc dlc
	s_waitcnt vmcnt(0) lgkmcnt(0)
	buffer_gl1_inv
	buffer_gl0_inv
	v_cmp_eq_u32_e32 vcc_lo, 0, v0
	s_and_b32 s13, vcc_lo, exec_lo
	s_or_b32 s12, s12, s13
	s_mov_b32 s13, -1
	s_or_b32 s10, s10, exec_lo
	s_and_saveexec_b32 s14, s12
	s_cbranch_execz .LBB6_1213
	s_branch .LBB6_1212
	.p2align	6
.LBB6_1216:                             ;   in Loop: Header=BB6_1214 Depth=1
	s_add_i32 s11, s11, 1
                                        ; implicit-def: $vgpr0
	s_mov_b32 s13, -1
	s_or_b32 s10, s10, exec_lo
	s_and_saveexec_b32 s14, s12
	s_cbranch_execz .LBB6_1213
	s_branch .LBB6_1212
.LBB6_1217:
	s_inst_prefetch 0x2
	s_or_b32 exec_lo, exec_lo, s7
	s_and_saveexec_b32 s7, s4
	s_xor_b32 s7, exec_lo, s7
	s_cbranch_execz .LBB6_1219
; %bb.1218:
	s_waitcnt_vscnt null, 0x0
	ds_write_b32 v0, v0
	s_trap 2
.LBB6_1219:
	s_or_b32 exec_lo, exec_lo, s6
	v_and_b32_e32 v0, 0x2000, v112
	s_mov_b32 s4, exec_lo
	v_cmpx_ne_u32_e32 0, v0
	s_cbranch_execz .LBB6_1221
; %bb.1220:
	s_trap 2
	ds_read_b64 v[2:3], v0
	s_clause 0x1
	buffer_load_dword v4, off, s[0:3], s33 offset:280
	buffer_load_dword v5, off, s[0:3], s33 offset:284
	s_waitcnt vmcnt(0) lgkmcnt(0)
	flat_store_dwordx2 v[4:5], v[2:3] offset:16
.LBB6_1221:
	s_or_b32 exec_lo, exec_lo, s4
	s_waitcnt vmcnt(4)
	v_cmp_ne_u32_e32 vcc_lo, 32, v1
	s_and_b32 exec_lo, exec_lo, vcc_lo
	s_cbranch_execz .LBB6_1239
; %bb.1222:
	s_waitcnt vmcnt(0)
	v_cmp_ne_u32_sdwa s4, v1, v21 src0_sel:DWORD src1_sel:WORD_0
	s_and_saveexec_b32 s6, s4
	s_xor_b32 s4, exec_lo, s6
	s_cbranch_execz .LBB6_1237
; %bb.1223:
	v_and_b32_e32 v0, 31, v31
	s_mov_b32 s6, exec_lo
	v_cmpx_eq_u32_e32 0, v0
	s_cbranch_execz .LBB6_1236
; %bb.1224:
	s_mov_b32 s10, exec_lo
	s_mov_b32 s7, exec_lo
	v_mbcnt_lo_u32_b32 v0, s10, 0
	s_waitcnt lgkmcnt(0)
	s_waitcnt_vscnt null, 0x0
	buffer_gl1_inv
	buffer_gl0_inv
	v_cmpx_eq_u32_e32 0, v0
	s_cbranch_execz .LBB6_1226
; %bb.1225:
	s_bcnt1_i32_b32 s10, s10
	v_mov_b32_e32 v3, 0
	v_mov_b32_e32 v2, s10
	ds_add_u64 v0, v[2:3]
	s_trap 2
.LBB6_1226:
	s_or_b32 exec_lo, exec_lo, s7
	s_trap 2
	ds_read_b64 v[2:3], v0
	s_waitcnt lgkmcnt(0)
	buffer_gl0_inv
	v_lshrrev_b32_e32 v0, 5, v1
	s_mov_b32 s7, exec_lo
	v_add_co_u32 v0, vcc_lo, v50, v0
	v_add_co_ci_u32_e64 v1, null, 0, v51, vcc_lo
	v_cmpx_lt_u64_e64 v[2:3], v[0:1]
	s_cbranch_execz .LBB6_1235
; %bb.1227:
	s_mov_b32 s10, 0
	s_mov_b32 s13, 0
                                        ; implicit-def: $sgpr11
                                        ; implicit-def: $sgpr12
	s_inst_prefetch 0x1
	s_branch .LBB6_1229
	.p2align	6
.LBB6_1228:                             ;   in Loop: Header=BB6_1229 Depth=1
	s_or_b32 exec_lo, exec_lo, s15
	s_and_b32 s14, exec_lo, s16
	s_or_b32 s10, s14, s10
	s_andn2_b32 s11, s11, exec_lo
	s_and_b32 s14, s12, exec_lo
	s_or_b32 s11, s11, s14
	s_andn2_b32 exec_lo, exec_lo, s10
	s_cbranch_execz .LBB6_1233
.LBB6_1229:                             ; =>This Inner Loop Header: Depth=1
	s_add_i32 s13, s13, 1
	s_cmpk_lg_i32 s13, 0x2710
	s_cselect_b32 s14, -1, 0
	s_and_b32 vcc_lo, exec_lo, s14
	s_cbranch_vccz .LBB6_1231
; %bb.1230:                             ;   in Loop: Header=BB6_1229 Depth=1
	s_mov_b32 s16, -1
	s_or_b32 s12, s12, exec_lo
	s_and_saveexec_b32 s15, s14
	s_cbranch_execz .LBB6_1228
	s_branch .LBB6_1232
.LBB6_1231:                             ;   in Loop: Header=BB6_1229 Depth=1
	s_trap 2
	ds_read_b64 v[2:3], v0
	s_andn2_b32 s14, s14, exec_lo
	s_mov_b32 s13, 0
	s_waitcnt lgkmcnt(0)
	flat_load_dword v2, v[2:3] glc dlc
	s_waitcnt vmcnt(0) lgkmcnt(0)
	buffer_gl1_inv
	buffer_gl0_inv
	v_cmp_eq_u32_e32 vcc_lo, 0, v2
	s_and_b32 s15, vcc_lo, exec_lo
	s_or_b32 s14, s14, s15
	s_mov_b32 s16, -1
	s_or_b32 s12, s12, exec_lo
	s_and_saveexec_b32 s15, s14
	s_cbranch_execz .LBB6_1228
.LBB6_1232:                             ;   in Loop: Header=BB6_1229 Depth=1
	s_sleep 1
	s_trap 2
	ds_read_b64 v[2:3], v0
	s_waitcnt lgkmcnt(0)
	buffer_gl0_inv
	s_andn2_b32 s12, s12, exec_lo
	v_cmp_ge_u64_e32 vcc_lo, v[2:3], v[0:1]
	s_orn2_b32 s16, vcc_lo, exec_lo
	s_branch .LBB6_1228
.LBB6_1233:
	s_inst_prefetch 0x2
	s_or_b32 exec_lo, exec_lo, s10
	s_and_saveexec_b32 s10, s11
	s_xor_b32 s10, exec_lo, s10
	s_cbranch_execz .LBB6_1235
; %bb.1234:
	v_mov_b32_e32 v0, 1
	ds_write_b32 v0, v0
	s_trap 2
.LBB6_1235:
	s_or_b32 exec_lo, exec_lo, s7
	;;#ASMSTART
	s_wakeup
	;;#ASMEND
.LBB6_1236:
	s_or_b32 exec_lo, exec_lo, s6
.LBB6_1237:
	s_andn2_saveexec_b32 s4, s4
	s_cbranch_execz .LBB6_1239
; %bb.1238:
	s_waitcnt lgkmcnt(0)
	s_waitcnt_vscnt null, 0x0
	buffer_gl1_inv
	buffer_gl0_inv
	s_barrier
.LBB6_1239:
	s_or_b32 exec_lo, exec_lo, s5
.LBB6_1240:
	s_andn2_saveexec_b32 s25, s29
	s_cbranch_execz .LBB6_1242
; %bb.1241:
	s_getpc_b64 s[4:5]
	s_add_u32 s4, s4, __PRETTY_FUNCTION__._ZN10PrimitivesIh10FuncMinMaxIhE12FanSymmetricILi1EELi0E11ProtoSimpleILi2ELi2ELi0ELi4ELi0ELi0EELi0ELb0ELi0ELi0ELi0EEC2EiiPKiS8_PKvPvmhhhP15ncclDevWorkCollP14ncclDevWorkP2pii@rel32@lo+4
	s_addc_u32 s5, s5, __PRETTY_FUNCTION__._ZN10PrimitivesIh10FuncMinMaxIhE12FanSymmetricILi1EELi0E11ProtoSimpleILi2ELi2ELi0ELi4ELi0ELi0EELi0ELb0ELi0ELi0ELi0EEC2EiiPKiS8_PKvPvmhhhP15ncclDevWorkCollP14ncclDevWorkP2pii@rel32@hi+12
	v_mov_b32_e32 v0, s4
	s_waitcnt vmcnt(4)
	v_mov_b32_e32 v1, s5
	s_getpc_b64 s[6:7]
	s_add_u32 s6, s6, __assert_fail@rel32@lo+4
	s_addc_u32 s7, s7, __assert_fail@rel32@hi+12
	s_swappc_b64 s[30:31], s[6:7]
	; divergent unreachable
.LBB6_1242:
	s_or_b32 exec_lo, exec_lo, s25
	s_clause 0x2e
	buffer_load_dword v126, off, s[0:3], s33
	buffer_load_dword v125, off, s[0:3], s33 offset:4
	buffer_load_dword v124, off, s[0:3], s33 offset:8
	;; [unrolled: 1-line block ×46, first 2 shown]
	v_readlane_b32 s30, v127, 0
	v_readlane_b32 s31, v127, 1
	s_mov_b32 s32, s33
	s_or_saveexec_b32 s4, -1
	buffer_load_dword v127, off, s[0:3], s33 offset:288 ; 4-byte Folded Reload
	s_mov_b32 exec_lo, s4
	s_mov_b32 s33, s93
	s_waitcnt vmcnt(0) lgkmcnt(0)
	s_setpc_b64 s[30:31]
.Lfunc_end6:
	.size	_ZN12_GLOBAL__N_17runRingIh10FuncMinMaxIhE11ProtoSimpleILi2ELi2ELi0ELi4ELi0ELi0EELi0ELi0ELi4ELi0EEEviiP15ncclDevWorkColl, .Lfunc_end6-_ZN12_GLOBAL__N_17runRingIh10FuncMinMaxIhE11ProtoSimpleILi2ELi2ELi0ELi4ELi0ELi0EELi0ELi0ELi4ELi0EEEviiP15ncclDevWorkColl
                                        ; -- End function
	.set .L_ZN12_GLOBAL__N_17runRingIh10FuncMinMaxIhE11ProtoSimpleILi2ELi2ELi0ELi4ELi0ELi0EELi0ELi0ELi4ELi0EEEviiP15ncclDevWorkColl.num_vgpr, max(128, .L__assert_fail.num_vgpr)
	.set .L_ZN12_GLOBAL__N_17runRingIh10FuncMinMaxIhE11ProtoSimpleILi2ELi2ELi0ELi4ELi0ELi0EELi0ELi0ELi4ELi0EEEviiP15ncclDevWorkColl.num_agpr, max(0, .L__assert_fail.num_agpr)
	.set .L_ZN12_GLOBAL__N_17runRingIh10FuncMinMaxIhE11ProtoSimpleILi2ELi2ELi0ELi4ELi0ELi0EELi0ELi0ELi4ELi0EEEviiP15ncclDevWorkColl.numbered_sgpr, max(94, .L__assert_fail.numbered_sgpr)
	.set .L_ZN12_GLOBAL__N_17runRingIh10FuncMinMaxIhE11ProtoSimpleILi2ELi2ELi0ELi4ELi0ELi0EELi0ELi0ELi4ELi0EEEviiP15ncclDevWorkColl.num_named_barrier, max(0, .L__assert_fail.num_named_barrier)
	.set .L_ZN12_GLOBAL__N_17runRingIh10FuncMinMaxIhE11ProtoSimpleILi2ELi2ELi0ELi4ELi0ELi0EELi0ELi0ELi4ELi0EEEviiP15ncclDevWorkColl.private_seg_size, 304+max(.L__assert_fail.private_seg_size)
	.set .L_ZN12_GLOBAL__N_17runRingIh10FuncMinMaxIhE11ProtoSimpleILi2ELi2ELi0ELi4ELi0ELi0EELi0ELi0ELi4ELi0EEEviiP15ncclDevWorkColl.uses_vcc, or(1, .L__assert_fail.uses_vcc)
	.set .L_ZN12_GLOBAL__N_17runRingIh10FuncMinMaxIhE11ProtoSimpleILi2ELi2ELi0ELi4ELi0ELi0EELi0ELi0ELi4ELi0EEEviiP15ncclDevWorkColl.uses_flat_scratch, or(1, .L__assert_fail.uses_flat_scratch)
	.set .L_ZN12_GLOBAL__N_17runRingIh10FuncMinMaxIhE11ProtoSimpleILi2ELi2ELi0ELi4ELi0ELi0EELi0ELi0ELi4ELi0EEEviiP15ncclDevWorkColl.has_dyn_sized_stack, or(0, .L__assert_fail.has_dyn_sized_stack)
	.set .L_ZN12_GLOBAL__N_17runRingIh10FuncMinMaxIhE11ProtoSimpleILi2ELi2ELi0ELi4ELi0ELi0EELi0ELi0ELi4ELi0EEEviiP15ncclDevWorkColl.has_recursion, or(1, .L__assert_fail.has_recursion)
	.set .L_ZN12_GLOBAL__N_17runRingIh10FuncMinMaxIhE11ProtoSimpleILi2ELi2ELi0ELi4ELi0ELi0EELi0ELi0ELi4ELi0EEEviiP15ncclDevWorkColl.has_indirect_call, or(0, .L__assert_fail.has_indirect_call)
	.section	.AMDGPU.csdata,"",@progbits
; Function info:
; codeLenInByte = 60124
; TotalNumSgprs: 96
; NumVgprs: 128
; ScratchSize: 368
; MemoryBound: 1
	.text
	.p2align	2                               ; -- Begin function _Z49ncclDevFunc_AllReduce_RING_SIMPLE_MinMax_u8_0_0_4v
	.type	_Z49ncclDevFunc_AllReduce_RING_SIMPLE_MinMax_u8_0_0_4v,@function
_Z49ncclDevFunc_AllReduce_RING_SIMPLE_MinMax_u8_0_0_4v: ; @_Z49ncclDevFunc_AllReduce_RING_SIMPLE_MinMax_u8_0_0_4v
; %bb.0:
	s_waitcnt vmcnt(0) expcnt(0) lgkmcnt(0)
	s_mov_b32 s4, s33
	s_mov_b32 s33, s32
	s_or_saveexec_b32 s5, -1
	buffer_store_dword v43, off, s[0:3], s33 offset:16 ; 4-byte Folded Spill
	s_mov_b32 exec_lo, s5
	v_writelane_b32 v43, s4, 4
	s_addk_i32 s32, 0x400
	buffer_store_dword v40, off, s[0:3], s33 offset:12 ; 4-byte Folded Spill
	buffer_store_dword v41, off, s[0:3], s33 offset:8 ; 4-byte Folded Spill
	;; [unrolled: 1-line block ×3, first 2 shown]
	buffer_store_dword v127, off, s[0:3], s33 ; 4-byte Folded Spill
	v_writelane_b32 v43, s34, 0
	v_writelane_b32 v43, s35, 1
	;; [unrolled: 1-line block ×4, first 2 shown]
	s_trap 2
	ds_read_b32 v0, v0
	v_mov_b32_e32 v40, v31
	s_mov_b32 s34, s12
	s_mov_b64 s[94:95], s[8:9]
	s_mov_b32 s4, exec_lo
	v_and_b32_e32 v41, 0x3ff, v40
	s_waitcnt lgkmcnt(0)
	v_cmpx_lt_i32_e64 v41, v0
	s_cbranch_execz .LBB7_5
; %bb.1:
	s_load_dword s5, s[94:95], 0x0
	v_mov_b32_e32 v1, 0
	v_mov_b32_e32 v3, v41
                                        ; implicit-def: $vgpr4
	s_waitcnt lgkmcnt(0)
	s_cmp_lt_u32 s34, s5
	s_cselect_b32 s5, 12, 18
	s_add_u32 s6, s94, s5
	s_addc_u32 s7, s95, 0
	s_mov_b32 s5, 0
	global_load_ushort v1, v1, s[6:7]
	s_trap 2
	ds_read_b32 v2, v0
	s_mov_b32 s6, 0
	s_waitcnt vmcnt(0) lgkmcnt(0)
	v_mul_lo_u32 v2, v2, v1
	s_branch .LBB7_3
	.p2align	6
.LBB7_2:                                ;   in Loop: Header=BB7_3 Depth=1
	s_or_b32 exec_lo, exec_lo, s7
	v_add_nc_u32_e32 v3, v3, v1
	v_add_nc_u32_e32 v4, v4, v2
	v_cmp_ge_i32_e32 vcc_lo, v3, v0
	s_or_b32 s6, vcc_lo, s6
	s_andn2_b32 exec_lo, exec_lo, s6
	s_cbranch_execz .LBB7_5
.LBB7_3:                                ; =>This Inner Loop Header: Depth=1
	ds_read_b32 v5, v4
	s_mov_b32 s7, exec_lo
	s_waitcnt lgkmcnt(0)
	v_and_b32_e32 v5, 0x1000000, v5
	v_cmpx_ne_u32_e32 0, v5
	s_cbranch_execz .LBB7_2
; %bb.4:                                ;   in Loop: Header=BB7_3 Depth=1
	ds_read_b64 v[5:6], v4 offset:104
	s_waitcnt lgkmcnt(0)
	flat_load_ubyte v5, v[5:6]
	v_mov_b32_e32 v6, s5
	s_waitcnt vmcnt(0) lgkmcnt(0)
	v_and_b32_e32 v5, 0xffff, v5
	ds_write_b64 v4, v[5:6] offset:104
	s_branch .LBB7_2
.LBB7_5:
	s_or_b32 exec_lo, exec_lo, s4
	s_waitcnt lgkmcnt(0)
	s_waitcnt_vscnt null, 0x0
	s_barrier
	buffer_gl0_inv
	s_trap 2
	ds_read_b32 v0, v0
	s_waitcnt lgkmcnt(0)
	v_cmp_gt_i32_e32 vcc_lo, 1, v0
	s_cbranch_vccnz .LBB7_13
; %bb.6:
	v_mov_b32_e32 v42, 5
	s_mov_b32 vcc_hi, 0
	s_inst_prefetch 0x1
	s_branch .LBB7_8
	.p2align	6
.LBB7_7:                                ;   in Loop: Header=BB7_8 Depth=1
	s_or_b32 exec_lo, exec_lo, s35
	s_trap 2
	ds_read_b32 v0, v0
	s_add_i32 vcc_hi, vcc_hi, 1
	s_waitcnt lgkmcnt(0)
	v_cmp_lt_i32_e32 vcc_lo, vcc_hi, v0
	s_cbranch_vccz .LBB7_13
.LBB7_8:                                ; =>This Inner Loop Header: Depth=1
	s_trap 2
	ds_read_b32 v0, v0
	s_cmp_eq_u32 vcc_hi, 0
	s_cbranch_scc1 .LBB7_11
; %bb.9:                                ;   in Loop: Header=BB7_8 Depth=1
	s_trap 2
	s_waitcnt lgkmcnt(0)
	ds_read_b32 v1, v0
	s_waitcnt lgkmcnt(0)
	v_xor_b32_e32 v1, v1, v0
	v_and_b32_e32 v1, 0xff0000, v1
	v_cmp_eq_u32_e32 vcc_lo, 0, v1
	s_cbranch_vccnz .LBB7_11
; %bb.10:                               ;   in Loop: Header=BB7_8 Depth=1
	s_barrier
	buffer_gl0_inv
	ds_read_b32 v0, v0
.LBB7_11:                               ;   in Loop: Header=BB7_8 Depth=1
	s_waitcnt lgkmcnt(0)
	v_lshlrev_b32_sdwa v1, v42, v0 dst_sel:DWORD dst_unused:UNUSED_PAD src0_sel:DWORD src1_sel:BYTE_2
	s_mov_b32 s35, exec_lo
	v_cmpx_lt_u32_e64 v41, v1
	s_cbranch_execz .LBB7_7
; %bb.12:                               ;   in Loop: Header=BB7_8 Depth=1
	s_mov_b64 s[4:5], src_shared_base
	v_mov_b32_e32 v31, v40
	v_mov_b32_e32 v0, v41
	;; [unrolled: 1-line block ×3, first 2 shown]
	s_getpc_b64 s[6:7]
	s_add_u32 s6, s6, _ZN12_GLOBAL__N_17runRingIh10FuncMinMaxIhE11ProtoSimpleILi2ELi2ELi0ELi4ELi0ELi0EELi0ELi0ELi4ELi0EEEviiP15ncclDevWorkColl@rel32@lo+4
	s_addc_u32 s7, s7, _ZN12_GLOBAL__N_17runRingIh10FuncMinMaxIhE11ProtoSimpleILi2ELi2ELi0ELi4ELi0ELi0EELi0ELi0ELi4ELi0EEEviiP15ncclDevWorkColl@rel32@hi+12
	s_mov_b64 s[8:9], s[94:95]
	s_mov_b32 s12, s34
	s_swappc_b64 s[30:31], s[6:7]
	s_branch .LBB7_7
.LBB7_13:
	s_inst_prefetch 0x2
	s_clause 0x3
	buffer_load_dword v127, off, s[0:3], s33
	buffer_load_dword v42, off, s[0:3], s33 offset:4
	buffer_load_dword v41, off, s[0:3], s33 offset:8
	;; [unrolled: 1-line block ×3, first 2 shown]
	v_readlane_b32 s30, v43, 2
	v_readlane_b32 s31, v43, 3
	;; [unrolled: 1-line block ×4, first 2 shown]
	s_mov_b32 s32, s33
	v_readlane_b32 s4, v43, 4
	s_or_saveexec_b32 s5, -1
	buffer_load_dword v43, off, s[0:3], s33 offset:16 ; 4-byte Folded Reload
	s_mov_b32 exec_lo, s5
	s_mov_b32 s33, s4
	s_waitcnt vmcnt(0)
	s_setpc_b64 s[30:31]
.Lfunc_end7:
	.size	_Z49ncclDevFunc_AllReduce_RING_SIMPLE_MinMax_u8_0_0_4v, .Lfunc_end7-_Z49ncclDevFunc_AllReduce_RING_SIMPLE_MinMax_u8_0_0_4v
                                        ; -- End function
	.set .L_Z49ncclDevFunc_AllReduce_RING_SIMPLE_MinMax_u8_0_0_4v.num_vgpr, max(128, .L_ZN12_GLOBAL__N_17runRingIh10FuncMinMaxIhE11ProtoSimpleILi2ELi2ELi0ELi4ELi0ELi0EELi0ELi0ELi4ELi0EEEviiP15ncclDevWorkColl.num_vgpr)
	.set .L_Z49ncclDevFunc_AllReduce_RING_SIMPLE_MinMax_u8_0_0_4v.num_agpr, max(0, .L_ZN12_GLOBAL__N_17runRingIh10FuncMinMaxIhE11ProtoSimpleILi2ELi2ELi0ELi4ELi0ELi0EELi0ELi0ELi4ELi0EEEviiP15ncclDevWorkColl.num_agpr)
	.set .L_Z49ncclDevFunc_AllReduce_RING_SIMPLE_MinMax_u8_0_0_4v.numbered_sgpr, max(96, .L_ZN12_GLOBAL__N_17runRingIh10FuncMinMaxIhE11ProtoSimpleILi2ELi2ELi0ELi4ELi0ELi0EELi0ELi0ELi4ELi0EEEviiP15ncclDevWorkColl.numbered_sgpr)
	.set .L_Z49ncclDevFunc_AllReduce_RING_SIMPLE_MinMax_u8_0_0_4v.num_named_barrier, max(0, .L_ZN12_GLOBAL__N_17runRingIh10FuncMinMaxIhE11ProtoSimpleILi2ELi2ELi0ELi4ELi0ELi0EELi0ELi0ELi4ELi0EEEviiP15ncclDevWorkColl.num_named_barrier)
	.set .L_Z49ncclDevFunc_AllReduce_RING_SIMPLE_MinMax_u8_0_0_4v.private_seg_size, 32+max(.L_ZN12_GLOBAL__N_17runRingIh10FuncMinMaxIhE11ProtoSimpleILi2ELi2ELi0ELi4ELi0ELi0EELi0ELi0ELi4ELi0EEEviiP15ncclDevWorkColl.private_seg_size)
	.set .L_Z49ncclDevFunc_AllReduce_RING_SIMPLE_MinMax_u8_0_0_4v.uses_vcc, or(1, .L_ZN12_GLOBAL__N_17runRingIh10FuncMinMaxIhE11ProtoSimpleILi2ELi2ELi0ELi4ELi0ELi0EELi0ELi0ELi4ELi0EEEviiP15ncclDevWorkColl.uses_vcc)
	.set .L_Z49ncclDevFunc_AllReduce_RING_SIMPLE_MinMax_u8_0_0_4v.uses_flat_scratch, or(0, .L_ZN12_GLOBAL__N_17runRingIh10FuncMinMaxIhE11ProtoSimpleILi2ELi2ELi0ELi4ELi0ELi0EELi0ELi0ELi4ELi0EEEviiP15ncclDevWorkColl.uses_flat_scratch)
	.set .L_Z49ncclDevFunc_AllReduce_RING_SIMPLE_MinMax_u8_0_0_4v.has_dyn_sized_stack, or(0, .L_ZN12_GLOBAL__N_17runRingIh10FuncMinMaxIhE11ProtoSimpleILi2ELi2ELi0ELi4ELi0ELi0EELi0ELi0ELi4ELi0EEEviiP15ncclDevWorkColl.has_dyn_sized_stack)
	.set .L_Z49ncclDevFunc_AllReduce_RING_SIMPLE_MinMax_u8_0_0_4v.has_recursion, or(1, .L_ZN12_GLOBAL__N_17runRingIh10FuncMinMaxIhE11ProtoSimpleILi2ELi2ELi0ELi4ELi0ELi0EELi0ELi0ELi4ELi0EEEviiP15ncclDevWorkColl.has_recursion)
	.set .L_Z49ncclDevFunc_AllReduce_RING_SIMPLE_MinMax_u8_0_0_4v.has_indirect_call, or(0, .L_ZN12_GLOBAL__N_17runRingIh10FuncMinMaxIhE11ProtoSimpleILi2ELi2ELi0ELi4ELi0ELi0EELi0ELi0ELi4ELi0EEEviiP15ncclDevWorkColl.has_indirect_call)
	.section	.AMDGPU.csdata,"",@progbits
; Function info:
; codeLenInByte = 752
; TotalNumSgprs: 98
; NumVgprs: 128
; ScratchSize: 400
; MemoryBound: 0
	.text
	.p2alignl 6, 3214868480
	.fill 48, 4, 3214868480
	.section	.AMDGPU.gpr_maximums,"",@progbits
	.set amdgpu.max_num_vgpr, 128
	.set amdgpu.max_num_agpr, 0
	.set amdgpu.max_num_sgpr, 96
	.text
	.type	__const.__assert_fail.fmt,@object ; @__const.__assert_fail.fmt
	.section	.rodata.str1.16,"aMS",@progbits,1
	.p2align	4, 0x0
__const.__assert_fail.fmt:
	.asciz	"%s:%u: %s: Device-side assertion `%s' failed.\n"
	.size	__const.__assert_fail.fmt, 47

	.type	.str.3,@object                  ; @.str.3
	.section	.rodata.str1.1,"aMS",@progbits,1
.str.3:
	.asciz	"2*(nrecv+nsend) <= nthreads"
	.size	.str.3, 28

	.type	.str.4,@object                  ; @.str.4
.str.4:
	.asciz	"/root/src/amdgpu-assembly/repos/ROCm__rccl/hipify/src/device/prims_simple.h"
	.size	.str.4, 76

	.type	__PRETTY_FUNCTION__._ZN10PrimitivesIh10FuncMinMaxIhE12FanSymmetricILi1EELi0E11ProtoSimpleILi2ELi2ELi0ELi1ELi0ELi0EELi0ELb0ELi0ELi0ELi0EEC2EiiPKiS8_PKvPvmhhhP15ncclDevWorkCollP14ncclDevWorkP2pii,@object ; @__PRETTY_FUNCTION__._ZN10PrimitivesIh10FuncMinMaxIhE12FanSymmetricILi1EELi0E11ProtoSimpleILi2ELi2ELi0ELi1ELi0ELi0EELi0ELb0ELi0ELi0ELi0EEC2EiiPKiS8_PKvPvmhhhP15ncclDevWorkCollP14ncclDevWorkP2pii
__PRETTY_FUNCTION__._ZN10PrimitivesIh10FuncMinMaxIhE12FanSymmetricILi1EELi0E11ProtoSimpleILi2ELi2ELi0ELi1ELi0ELi0EELi0ELb0ELi0ELi0ELi0EEC2EiiPKiS8_PKvPvmhhhP15ncclDevWorkCollP14ncclDevWorkP2pii:
	.asciz	"Primitives<unsigned char, FuncMinMax<unsigned char>, FanSymmetric<1>, 0, ProtoSimple<2, 2, 0, 1>, 0>::Primitives(int, int, const int *, const int *, const void *, void *, uint64_t, uint8_t, uint8_t, uint8_t, struct ncclDevWorkColl *, struct ncclDevWorkP2p *, int, int) [T = unsigned char, RedOp = FuncMinMax<unsigned char>, Fan = FanSymmetric<1>, Direct = 0, Proto = ProtoSimple<2, 2, 0, 1>, P2p = 0, isNetOffload = false, Metadata = 0, Pipeline = 0, useAcc = 0]"
	.size	__PRETTY_FUNCTION__._ZN10PrimitivesIh10FuncMinMaxIhE12FanSymmetricILi1EELi0E11ProtoSimpleILi2ELi2ELi0ELi1ELi0ELi0EELi0ELb0ELi0ELi0ELi0EEC2EiiPKiS8_PKvPvmhhhP15ncclDevWorkCollP14ncclDevWorkP2pii, 463

	.type	__PRETTY_FUNCTION__._ZN10PrimitivesIh10FuncMinMaxIhE12FanSymmetricILi1EELi0E11ProtoSimpleILi2ELi2ELi0ELi2ELi0ELi0EELi0ELb0ELi0ELi0ELi0EEC2EiiPKiS8_PKvPvmhhhP15ncclDevWorkCollP14ncclDevWorkP2pii,@object ; @__PRETTY_FUNCTION__._ZN10PrimitivesIh10FuncMinMaxIhE12FanSymmetricILi1EELi0E11ProtoSimpleILi2ELi2ELi0ELi2ELi0ELi0EELi0ELb0ELi0ELi0ELi0EEC2EiiPKiS8_PKvPvmhhhP15ncclDevWorkCollP14ncclDevWorkP2pii
__PRETTY_FUNCTION__._ZN10PrimitivesIh10FuncMinMaxIhE12FanSymmetricILi1EELi0E11ProtoSimpleILi2ELi2ELi0ELi2ELi0ELi0EELi0ELb0ELi0ELi0ELi0EEC2EiiPKiS8_PKvPvmhhhP15ncclDevWorkCollP14ncclDevWorkP2pii:
	.asciz	"Primitives<unsigned char, FuncMinMax<unsigned char>, FanSymmetric<1>, 0, ProtoSimple<2, 2, 0, 2>, 0>::Primitives(int, int, const int *, const int *, const void *, void *, uint64_t, uint8_t, uint8_t, uint8_t, struct ncclDevWorkColl *, struct ncclDevWorkP2p *, int, int) [T = unsigned char, RedOp = FuncMinMax<unsigned char>, Fan = FanSymmetric<1>, Direct = 0, Proto = ProtoSimple<2, 2, 0, 2>, P2p = 0, isNetOffload = false, Metadata = 0, Pipeline = 0, useAcc = 0]"
	.size	__PRETTY_FUNCTION__._ZN10PrimitivesIh10FuncMinMaxIhE12FanSymmetricILi1EELi0E11ProtoSimpleILi2ELi2ELi0ELi2ELi0ELi0EELi0ELb0ELi0ELi0ELi0EEC2EiiPKiS8_PKvPvmhhhP15ncclDevWorkCollP14ncclDevWorkP2pii, 463

	.type	__PRETTY_FUNCTION__._ZN10PrimitivesIh10FuncMinMaxIhE12FanSymmetricILi1EELi0E11ProtoSimpleILi2ELi2ELi0ELi4ELi0ELi0EELi0ELb0ELi0ELi0ELi0EEC2EiiPKiS8_PKvPvmhhhP15ncclDevWorkCollP14ncclDevWorkP2pii,@object ; @__PRETTY_FUNCTION__._ZN10PrimitivesIh10FuncMinMaxIhE12FanSymmetricILi1EELi0E11ProtoSimpleILi2ELi2ELi0ELi4ELi0ELi0EELi0ELb0ELi0ELi0ELi0EEC2EiiPKiS8_PKvPvmhhhP15ncclDevWorkCollP14ncclDevWorkP2pii
__PRETTY_FUNCTION__._ZN10PrimitivesIh10FuncMinMaxIhE12FanSymmetricILi1EELi0E11ProtoSimpleILi2ELi2ELi0ELi4ELi0ELi0EELi0ELb0ELi0ELi0ELi0EEC2EiiPKiS8_PKvPvmhhhP15ncclDevWorkCollP14ncclDevWorkP2pii:
	.asciz	"Primitives<unsigned char, FuncMinMax<unsigned char>, FanSymmetric<1>, 0, ProtoSimple<2, 2, 0, 4>, 0>::Primitives(int, int, const int *, const int *, const void *, void *, uint64_t, uint8_t, uint8_t, uint8_t, struct ncclDevWorkColl *, struct ncclDevWorkP2p *, int, int) [T = unsigned char, RedOp = FuncMinMax<unsigned char>, Fan = FanSymmetric<1>, Direct = 0, Proto = ProtoSimple<2, 2, 0, 4>, P2p = 0, isNetOffload = false, Metadata = 0, Pipeline = 0, useAcc = 0]"
	.size	__PRETTY_FUNCTION__._ZN10PrimitivesIh10FuncMinMaxIhE12FanSymmetricILi1EELi0E11ProtoSimpleILi2ELi2ELi0ELi4ELi0ELi0EELi0ELb0ELi0ELi0ELi0EEC2EiiPKiS8_PKvPvmhhhP15ncclDevWorkCollP14ncclDevWorkP2pii, 463

	.type	__hip_cuid_ee938b7c3780731b,@object ; @__hip_cuid_ee938b7c3780731b
	.section	.bss,"aw",@nobits
	.globl	__hip_cuid_ee938b7c3780731b
__hip_cuid_ee938b7c3780731b:
	.byte	0                               ; 0x0
	.size	__hip_cuid_ee938b7c3780731b, 1

	.ident	"AMD clang version 22.0.0git (https://github.com/RadeonOpenCompute/llvm-project roc-7.2.4 26084 f58b06dce1f9c15707c5f808fd002e18c2accf7e)"
	.section	".note.GNU-stack","",@progbits
	.addrsig
	.addrsig_sym _Z49ncclDevFunc_AllReduce_RING_SIMPLE_MinMax_u8_0_0_1v
	.addrsig_sym _Z49ncclDevFunc_AllReduce_RING_SIMPLE_MinMax_u8_0_0_2v
	.addrsig_sym _Z49ncclDevFunc_AllReduce_RING_SIMPLE_MinMax_u8_0_0_4v
	.addrsig_sym ncclShmem
	.addrsig_sym __hip_cuid_ee938b7c3780731b
	.amdgpu_metadata
---
amdhsa.kernels:  []
amdhsa.target:   amdgcn-amd-amdhsa--gfx1030
amdhsa.version:
  - 1
  - 2
...

	.end_amdgpu_metadata
